;; amdgpu-corpus repo=llvm/llvm-project kind=harvested arch=n/a opt=n/a
// NOTE: Assertions have been autogenerated by utils/update_mc_test_checks.py UTC_ARGS: --unique --version 5
// RUN: not llvm-mc -triple=amdgcn -mcpu=gfx1100 -mattr=+wavefrontsize32,+real-true16 -show-encoding %s | FileCheck --check-prefixes=GFX11,W32 %s
// RUN: not llvm-mc -triple=amdgcn -mcpu=gfx1100 -mattr=+wavefrontsize64,+real-true16 -show-encoding %s | FileCheck --check-prefixes=GFX11,W64 %s
// RUN: not llvm-mc -triple=amdgcn -mcpu=gfx1100 -mattr=+wavefrontsize32,+real-true16 -filetype=null %s 2>&1 | FileCheck --check-prefix=W32-ERR --implicit-check-not=error: %s
// RUN: not llvm-mc -triple=amdgcn -mcpu=gfx1100 -mattr=+wavefrontsize64,+real-true16 -filetype=null %s 2>&1 | FileCheck --check-prefix=W64-ERR --implicit-check-not=error: %s

v_add_co_ci_u32_e64 v5, s6, v1, 0xaf123456, s3
// W32: v_add_co_ci_u32_e64 v5, s6, v1, 0xaf123456, s3 ; encoding: [0x05,0x06,0x20,0xd5,0x01,0xff,0x0d,0x00,0x56,0x34,0x12,0xaf]
// W64-ERR: :[[@LINE-2]]:25: error: invalid operand for instruction

v_add_co_ci_u32_e64 v5, s6, v255, src_scc, s3
// W32: v_add_co_ci_u32_e64 v5, s6, v255, src_scc, s3 ; encoding: [0x05,0x06,0x20,0xd5,0xff,0xfb,0x0d,0x00]
// W64-ERR: :[[@LINE-2]]:25: error: invalid operand for instruction

v_add_co_ci_u32_e64 v5, s6, s105, s105, s3
// W32: v_add_co_ci_u32_e64 v5, s6, s105, s105, s3 ; encoding: [0x05,0x06,0x20,0xd5,0x69,0xd2,0x0c,0x00]
// W64-ERR: :[[@LINE-2]]:25: error: invalid operand for instruction

v_add_co_ci_u32_e64 v5, s6, vcc_lo, v2, s3
// W32: v_add_co_ci_u32_e64 v5, s6, vcc_lo, v2, s3 ; encoding: [0x05,0x06,0x20,0xd5,0x6a,0x04,0x0e,0x00]
// W64-ERR: :[[@LINE-2]]:25: error: invalid operand for instruction

v_add_co_ci_u32_e64 v5, s6, vcc_hi, v255, s3
// W32: v_add_co_ci_u32_e64 v5, s6, vcc_hi, v255, s3 ; encoding: [0x05,0x06,0x20,0xd5,0x6b,0xfe,0x0f,0x00]
// W64-ERR: :[[@LINE-2]]:25: error: invalid operand for instruction

v_add_co_ci_u32_e64 v5, s6, ttmp15, ttmp15, s3
// W32: v_add_co_ci_u32_e64 v5, s6, ttmp15, ttmp15, s3 ; encoding: [0x05,0x06,0x20,0xd5,0x7b,0xf6,0x0c,0x00]
// W64-ERR: :[[@LINE-2]]:25: error: invalid operand for instruction

v_add_co_ci_u32_e64 v5, s6, m0, 0.5, s3
// W32: v_add_co_ci_u32_e64 v5, s6, m0, 0.5, s3 ; encoding: [0x05,0x06,0x20,0xd5,0x7d,0xe0,0x0d,0x00]
// W64-ERR: :[[@LINE-2]]:25: error: invalid operand for instruction

v_add_co_ci_u32_e64 v5, s6, exec_lo, exec_lo, s3
// W32: v_add_co_ci_u32_e64 v5, s6, exec_lo, exec_lo, s3 ; encoding: [0x05,0x06,0x20,0xd5,0x7e,0xfc,0x0c,0x00]
// W64-ERR: :[[@LINE-2]]:25: error: invalid operand for instruction

v_add_co_ci_u32_e64 v5, s6, exec_hi, -1, s3
// W32: v_add_co_ci_u32_e64 v5, s6, exec_hi, -1, s3 ; encoding: [0x05,0x06,0x20,0xd5,0x7f,0x82,0x0d,0x00]
// W64-ERR: :[[@LINE-2]]:25: error: invalid operand for instruction

v_add_co_ci_u32_e64 v5, s105, null, exec_hi, s105
// W32: v_add_co_ci_u32_e64 v5, s105, null, exec_hi, s105 ; encoding: [0x05,0x69,0x20,0xd5,0x7c,0xfe,0xa4,0x01]
// W64-ERR: :[[@LINE-2]]:25: error: invalid operand for instruction

v_add_co_ci_u32_e64 v5, vcc_lo, -1, m0, vcc_lo
// W32: v_add_co_ci_u32_e64 v5, vcc_lo, -1, m0, vcc_lo ; encoding: [0x05,0x6a,0x20,0xd5,0xc1,0xfa,0xa8,0x01]
// W64-ERR: :[[@LINE-2]]:25: error: invalid operand for instruction

v_add_co_ci_u32_e64 v5, vcc_hi, 0.5, vcc_lo, vcc_hi
// W32: v_add_co_ci_u32_e64 v5, vcc_hi, 0.5, vcc_lo, vcc_hi ; encoding: [0x05,0x6b,0x20,0xd5,0xf0,0xd4,0xac,0x01]
// W64-ERR: :[[@LINE-2]]:25: error: invalid operand for instruction

v_add_co_ci_u32_e64 v5, ttmp15, src_scc, null, ttmp15
// W32: v_add_co_ci_u32_e64 v5, ttmp15, src_scc, null, ttmp15 ; encoding: [0x05,0x7b,0x20,0xd5,0xfd,0xf8,0xec,0x01]
// W64-ERR: :[[@LINE-2]]:25: error: invalid operand for instruction

v_add_co_ci_u32_e64 v5, s[12:13], v1, 0xaf123456, s[6:7]
// W32-ERR: :[[@LINE-1]]:25: error: invalid operand for instruction
// W64: v_add_co_ci_u32_e64 v5, s[12:13], v1, 0xaf123456, s[6:7] ; encoding: [0x05,0x0c,0x20,0xd5,0x01,0xff,0x19,0x00,0x56,0x34,0x12,0xaf]

v_add_co_ci_u32_e64 v5, s[12:13], v255, src_scc, s[6:7]
// W32-ERR: :[[@LINE-1]]:25: error: invalid operand for instruction
// W64: v_add_co_ci_u32_e64 v5, s[12:13], v255, src_scc, s[6:7] ; encoding: [0x05,0x0c,0x20,0xd5,0xff,0xfb,0x19,0x00]

v_add_co_ci_u32_e64 v5, s[12:13], s105, s105, s[6:7]
// W32-ERR: :[[@LINE-1]]:25: error: invalid operand for instruction
// W64: v_add_co_ci_u32_e64 v5, s[12:13], s105, s105, s[6:7] ; encoding: [0x05,0x0c,0x20,0xd5,0x69,0xd2,0x18,0x00]

v_add_co_ci_u32_e64 v5, s[12:13], vcc_lo, v2, s[6:7]
// W32-ERR: :[[@LINE-1]]:25: error: invalid operand for instruction
// W64: v_add_co_ci_u32_e64 v5, s[12:13], vcc_lo, v2, s[6:7] ; encoding: [0x05,0x0c,0x20,0xd5,0x6a,0x04,0x1a,0x00]

v_add_co_ci_u32_e64 v5, s[12:13], vcc_hi, v255, s[6:7]
// W32-ERR: :[[@LINE-1]]:25: error: invalid operand for instruction
// W64: v_add_co_ci_u32_e64 v5, s[12:13], vcc_hi, v255, s[6:7] ; encoding: [0x05,0x0c,0x20,0xd5,0x6b,0xfe,0x1b,0x00]

v_add_co_ci_u32_e64 v5, s[12:13], ttmp15, ttmp15, s[6:7]
// W32-ERR: :[[@LINE-1]]:25: error: invalid operand for instruction
// W64: v_add_co_ci_u32_e64 v5, s[12:13], ttmp15, ttmp15, s[6:7] ; encoding: [0x05,0x0c,0x20,0xd5,0x7b,0xf6,0x18,0x00]

v_add_co_ci_u32_e64 v5, s[12:13], m0, 0.5, s[6:7]
// W32-ERR: :[[@LINE-1]]:25: error: invalid operand for instruction
// W64: v_add_co_ci_u32_e64 v5, s[12:13], m0, 0.5, s[6:7] ; encoding: [0x05,0x0c,0x20,0xd5,0x7d,0xe0,0x19,0x00]

v_add_co_ci_u32_e64 v5, s[12:13], exec_lo, exec_lo, s[6:7]
// W32-ERR: :[[@LINE-1]]:25: error: invalid operand for instruction
// W64: v_add_co_ci_u32_e64 v5, s[12:13], exec_lo, exec_lo, s[6:7] ; encoding: [0x05,0x0c,0x20,0xd5,0x7e,0xfc,0x18,0x00]

v_add_co_ci_u32_e64 v5, s[12:13], exec_hi, -1, s[6:7]
// W32-ERR: :[[@LINE-1]]:25: error: invalid operand for instruction
// W64: v_add_co_ci_u32_e64 v5, s[12:13], exec_hi, -1, s[6:7] ; encoding: [0x05,0x0c,0x20,0xd5,0x7f,0x82,0x19,0x00]

v_add_co_ci_u32_e64 v5, s[12:13], null, exec_hi, s[6:7]
// W32-ERR: :[[@LINE-1]]:25: error: invalid operand for instruction
// W64: v_add_co_ci_u32_e64 v5, s[12:13], null, exec_hi, s[6:7] ; encoding: [0x05,0x0c,0x20,0xd5,0x7c,0xfe,0x18,0x00]

v_add_co_ci_u32_e64 v5, s[104:105], -1, m0, s[104:105]
// W32-ERR: :[[@LINE-1]]:25: error: invalid operand for instruction
// W64: v_add_co_ci_u32_e64 v5, s[104:105], -1, m0, s[104:105] ; encoding: [0x05,0x68,0x20,0xd5,0xc1,0xfa,0xa0,0x01]

v_add_co_ci_u32_e64 v5, vcc, 0.5, vcc_lo, vcc
// W32-ERR: :[[@LINE-1]]:25: error: invalid operand for instruction
// W64: v_add_co_ci_u32_e64 v5, vcc, 0.5, vcc_lo, vcc ; encoding: [0x05,0x6a,0x20,0xd5,0xf0,0xd4,0xa8,0x01]

v_add_co_ci_u32_e64 v5, ttmp[14:15], src_scc, null, ttmp[14:15]
// W32-ERR: :[[@LINE-1]]:25: error: invalid operand for instruction
// W64: v_add_co_ci_u32_e64 v5, ttmp[14:15], src_scc, null, ttmp[14:15] ; encoding: [0x05,0x7a,0x20,0xd5,0xfd,0xf8,0xe8,0x01]

v_add_co_ci_u32_e64 v255, null, 0xaf123456, vcc_hi, null clamp
// GFX11: v_add_co_ci_u32_e64 v255, null, 0xaf123456, vcc_hi, null clamp ; encoding: [0xff,0xfc,0x20,0xd5,0xff,0xd6,0xf0,0x01,0x56,0x34,0x12,0xaf]

v_add_f16_e64 v5.l, v1.l, v2.l
// GFX11: v_add_f16_e64 v5.l, v1.l, v2.l          ; encoding: [0x05,0x00,0x32,0xd5,0x01,0x05,0x02,0x02]

v_add_f16_e64 v5.l, v255.l, v255.l
// GFX11: v_add_f16_e64 v5.l, v255.l, v255.l      ; encoding: [0x05,0x00,0x32,0xd5,0xff,0xff,0x03,0x02]

v_add_f16_e64 v5.l, s1, s2
// GFX11: v_add_f16_e64 v5.l, s1, s2              ; encoding: [0x05,0x00,0x32,0xd5,0x01,0x04,0x00,0x02]

v_add_f16_e64 v5.l, s105, s105
// GFX11: v_add_f16_e64 v5.l, s105, s105          ; encoding: [0x05,0x00,0x32,0xd5,0x69,0xd2,0x00,0x02]

v_add_f16_e64 v5.l, vcc_lo, ttmp15
// GFX11: v_add_f16_e64 v5.l, vcc_lo, ttmp15      ; encoding: [0x05,0x00,0x32,0xd5,0x6a,0xf6,0x00,0x02]

v_add_f16_e64 v5.l, vcc_hi, 0xfe0b
// GFX11: v_add_f16_e64 v5.l, vcc_hi, 0xfe0b      ; encoding: [0x05,0x00,0x32,0xd5,0x6b,0xfe,0x01,0x02,0x0b,0xfe,0x00,0x00]

v_add_f16_e64 v5.l, ttmp15, src_scc
// GFX11: v_add_f16_e64 v5.l, ttmp15, src_scc     ; encoding: [0x05,0x00,0x32,0xd5,0x7b,0xfa,0x01,0x02]

v_add_f16_e64 v5.l, m0, 0.5
// GFX11: v_add_f16_e64 v5.l, m0, 0.5             ; encoding: [0x05,0x00,0x32,0xd5,0x7d,0xe0,0x01,0x02]

v_add_f16_e64 v5.l, exec_lo, -1
// GFX11: v_add_f16_e64 v5.l, exec_lo, -1         ; encoding: [0x05,0x00,0x32,0xd5,0x7e,0x82,0x01,0x02]

v_add_f16_e64 v5.l, |exec_hi|, null
// GFX11: v_add_f16_e64 v5.l, |exec_hi|, null     ; encoding: [0x05,0x01,0x32,0xd5,0x7f,0xf8,0x00,0x02]

v_add_f16_e64 v5.l, null, exec_lo
// GFX11: v_add_f16_e64 v5.l, null, exec_lo       ; encoding: [0x05,0x00,0x32,0xd5,0x7c,0xfc,0x00,0x02]

v_add_f16_e64 v5.l, -1, exec_hi
// GFX11: v_add_f16_e64 v5.l, -1, exec_hi         ; encoding: [0x05,0x00,0x32,0xd5,0xc1,0xfe,0x00,0x02]

v_add_f16_e64 v5.l, 0.5, -m0 mul:2
// GFX11: v_add_f16_e64 v5.l, 0.5, -m0 mul:2      ; encoding: [0x05,0x00,0x32,0xd5,0xf0,0xfa,0x00,0x4a]

v_add_f16_e64 v5.l, -src_scc, |vcc_lo| mul:4
// GFX11: v_add_f16_e64 v5.l, -src_scc, |vcc_lo| mul:4 ; encoding: [0x05,0x02,0x32,0xd5,0xfd,0xd4,0x00,0x32]

v_add_f16_e64 v255.l, -|0xfe0b|, -|vcc_hi| clamp div:2
// GFX11: v_add_f16_e64 v255.l, -|0xfe0b|, -|vcc_hi| clamp div:2 ; encoding: [0xff,0x83,0x32,0xd5,0xff,0xd6,0x00,0x7a,0x0b,0xfe,0x00,0x00]

v_add_f16_e64 v5.l, v1.h, v2.l
// GFX11: v_add_f16_e64 v5.l, v1.h, v2.l op_sel:[1,0,0] ; encoding: [0x05,0x08,0x32,0xd5,0x01,0x05,0x02,0x02]

v_add_f16_e64 v5.l, v255.l, v255.h
// GFX11: v_add_f16_e64 v5.l, v255.l, v255.h op_sel:[0,1,0] ; encoding: [0x05,0x10,0x32,0xd5,0xff,0xff,0x03,0x02]

v_add_f16_e64 v255.h, -|0xfe0b|, -|vcc_hi| clamp div:2
// GFX11: v_add_f16_e64 v255.h, -|0xfe0b|, -|vcc_hi| op_sel:[0,0,1] clamp div:2 ; encoding: [0xff,0xc3,0x32,0xd5,0xff,0xd6,0x00,0x7a,0x0b,0xfe,0x00,0x00]

v_add_f32_e64 v5, v1, v2
// GFX11: v_add_f32_e64 v5, v1, v2                ; encoding: [0x05,0x00,0x03,0xd5,0x01,0x05,0x02,0x02]

v_add_f32_e64 v5, v255, v255
// GFX11: v_add_f32_e64 v5, v255, v255            ; encoding: [0x05,0x00,0x03,0xd5,0xff,0xff,0x03,0x02]

v_add_f32_e64 v5, s1, s2
// GFX11: v_add_f32_e64 v5, s1, s2                ; encoding: [0x05,0x00,0x03,0xd5,0x01,0x04,0x00,0x02]

v_add_f32_e64 v5, s105, s105
// GFX11: v_add_f32_e64 v5, s105, s105            ; encoding: [0x05,0x00,0x03,0xd5,0x69,0xd2,0x00,0x02]

v_add_f32_e64 v5, vcc_lo, ttmp15
// GFX11: v_add_f32_e64 v5, vcc_lo, ttmp15        ; encoding: [0x05,0x00,0x03,0xd5,0x6a,0xf6,0x00,0x02]

v_add_f32_e64 v5, vcc_hi, 0xaf123456
// GFX11: v_add_f32_e64 v5, vcc_hi, 0xaf123456    ; encoding: [0x05,0x00,0x03,0xd5,0x6b,0xfe,0x01,0x02,0x56,0x34,0x12,0xaf]

v_add_f32_e64 v5, ttmp15, src_scc
// GFX11: v_add_f32_e64 v5, ttmp15, src_scc       ; encoding: [0x05,0x00,0x03,0xd5,0x7b,0xfa,0x01,0x02]

v_add_f32_e64 v5, m0, 0.5
// GFX11: v_add_f32_e64 v5, m0, 0.5               ; encoding: [0x05,0x00,0x03,0xd5,0x7d,0xe0,0x01,0x02]

v_add_f32_e64 v5, exec_lo, -1
// GFX11: v_add_f32_e64 v5, exec_lo, -1           ; encoding: [0x05,0x00,0x03,0xd5,0x7e,0x82,0x01,0x02]

v_add_f32_e64 v5, |exec_hi|, null
// GFX11: v_add_f32_e64 v5, |exec_hi|, null       ; encoding: [0x05,0x01,0x03,0xd5,0x7f,0xf8,0x00,0x02]

v_add_f32_e64 v5, null, exec_lo
// GFX11: v_add_f32_e64 v5, null, exec_lo         ; encoding: [0x05,0x00,0x03,0xd5,0x7c,0xfc,0x00,0x02]

v_add_f32_e64 v5, -1, exec_hi
// GFX11: v_add_f32_e64 v5, -1, exec_hi           ; encoding: [0x05,0x00,0x03,0xd5,0xc1,0xfe,0x00,0x02]

v_add_f32_e64 v5, 0.5, -m0 mul:2
// GFX11: v_add_f32_e64 v5, 0.5, -m0 mul:2        ; encoding: [0x05,0x00,0x03,0xd5,0xf0,0xfa,0x00,0x4a]

v_add_f32_e64 v5, -src_scc, |vcc_lo| mul:4
// GFX11: v_add_f32_e64 v5, -src_scc, |vcc_lo| mul:4 ; encoding: [0x05,0x02,0x03,0xd5,0xfd,0xd4,0x00,0x32]

v_add_f32_e64 v255, -|0xaf123456|, -|vcc_hi| clamp div:2
// GFX11: v_add_f32_e64 v255, -|0xaf123456|, -|vcc_hi| clamp div:2 ; encoding: [0xff,0x83,0x03,0xd5,0xff,0xd6,0x00,0x7a,0x56,0x34,0x12,0xaf]

v_add_nc_u32_e64 v5, v1, v2
// GFX11: v_add_nc_u32_e64 v5, v1, v2             ; encoding: [0x05,0x00,0x25,0xd5,0x01,0x05,0x02,0x02]

v_add_nc_u32_e64 v5, v255, v255
// GFX11: v_add_nc_u32_e64 v5, v255, v255         ; encoding: [0x05,0x00,0x25,0xd5,0xff,0xff,0x03,0x02]

v_add_nc_u32_e64 v5, s1, s2
// GFX11: v_add_nc_u32_e64 v5, s1, s2             ; encoding: [0x05,0x00,0x25,0xd5,0x01,0x04,0x00,0x02]

v_add_nc_u32_e64 v5, s105, s105
// GFX11: v_add_nc_u32_e64 v5, s105, s105         ; encoding: [0x05,0x00,0x25,0xd5,0x69,0xd2,0x00,0x02]

v_add_nc_u32_e64 v5, vcc_lo, ttmp15
// GFX11: v_add_nc_u32_e64 v5, vcc_lo, ttmp15     ; encoding: [0x05,0x00,0x25,0xd5,0x6a,0xf6,0x00,0x02]

v_add_nc_u32_e64 v5, vcc_hi, 0xaf123456
// GFX11: v_add_nc_u32_e64 v5, vcc_hi, 0xaf123456 ; encoding: [0x05,0x00,0x25,0xd5,0x6b,0xfe,0x01,0x02,0x56,0x34,0x12,0xaf]

v_add_nc_u32_e64 v5, ttmp15, src_scc
// GFX11: v_add_nc_u32_e64 v5, ttmp15, src_scc    ; encoding: [0x05,0x00,0x25,0xd5,0x7b,0xfa,0x01,0x02]

v_add_nc_u32_e64 v5, m0, 0.5
// GFX11: v_add_nc_u32_e64 v5, m0, 0.5            ; encoding: [0x05,0x00,0x25,0xd5,0x7d,0xe0,0x01,0x02]

v_add_nc_u32_e64 v5, exec_lo, -1
// GFX11: v_add_nc_u32_e64 v5, exec_lo, -1        ; encoding: [0x05,0x00,0x25,0xd5,0x7e,0x82,0x01,0x02]

v_add_nc_u32_e64 v5, exec_hi, null
// GFX11: v_add_nc_u32_e64 v5, exec_hi, null      ; encoding: [0x05,0x00,0x25,0xd5,0x7f,0xf8,0x00,0x02]

v_add_nc_u32_e64 v5, null, exec_lo
// GFX11: v_add_nc_u32_e64 v5, null, exec_lo      ; encoding: [0x05,0x00,0x25,0xd5,0x7c,0xfc,0x00,0x02]

v_add_nc_u32_e64 v5, -1, exec_hi
// GFX11: v_add_nc_u32_e64 v5, -1, exec_hi        ; encoding: [0x05,0x00,0x25,0xd5,0xc1,0xfe,0x00,0x02]

v_add_nc_u32_e64 v5, 0.5, m0
// GFX11: v_add_nc_u32_e64 v5, 0.5, m0            ; encoding: [0x05,0x00,0x25,0xd5,0xf0,0xfa,0x00,0x02]

v_add_nc_u32_e64 v5, src_scc, vcc_lo
// GFX11: v_add_nc_u32_e64 v5, src_scc, vcc_lo    ; encoding: [0x05,0x00,0x25,0xd5,0xfd,0xd4,0x00,0x02]

v_add_nc_u32_e64 v255, 0xaf123456, vcc_hi clamp
// GFX11: v_add_nc_u32_e64 v255, 0xaf123456, vcc_hi clamp ; encoding: [0xff,0x80,0x25,0xd5,0xff,0xd6,0x00,0x02,0x56,0x34,0x12,0xaf]

v_and_b32_e64 v5, v1, v2
// GFX11: v_and_b32_e64 v5, v1, v2                ; encoding: [0x05,0x00,0x1b,0xd5,0x01,0x05,0x02,0x02]

v_and_b32_e64 v5, v255, v255
// GFX11: v_and_b32_e64 v5, v255, v255            ; encoding: [0x05,0x00,0x1b,0xd5,0xff,0xff,0x03,0x02]

v_and_b32_e64 v5, s1, s2
// GFX11: v_and_b32_e64 v5, s1, s2                ; encoding: [0x05,0x00,0x1b,0xd5,0x01,0x04,0x00,0x02]

v_and_b32_e64 v5, s105, s105
// GFX11: v_and_b32_e64 v5, s105, s105            ; encoding: [0x05,0x00,0x1b,0xd5,0x69,0xd2,0x00,0x02]

v_and_b32_e64 v5, vcc_lo, ttmp15
// GFX11: v_and_b32_e64 v5, vcc_lo, ttmp15        ; encoding: [0x05,0x00,0x1b,0xd5,0x6a,0xf6,0x00,0x02]

v_and_b32_e64 v5, vcc_hi, 0xaf123456
// GFX11: v_and_b32_e64 v5, vcc_hi, 0xaf123456    ; encoding: [0x05,0x00,0x1b,0xd5,0x6b,0xfe,0x01,0x02,0x56,0x34,0x12,0xaf]

v_and_b32_e64 v5, ttmp15, src_scc
// GFX11: v_and_b32_e64 v5, ttmp15, src_scc       ; encoding: [0x05,0x00,0x1b,0xd5,0x7b,0xfa,0x01,0x02]

v_and_b32_e64 v5, m0, 0.5
// GFX11: v_and_b32_e64 v5, m0, 0.5               ; encoding: [0x05,0x00,0x1b,0xd5,0x7d,0xe0,0x01,0x02]

v_and_b32_e64 v5, exec_lo, -1
// GFX11: v_and_b32_e64 v5, exec_lo, -1           ; encoding: [0x05,0x00,0x1b,0xd5,0x7e,0x82,0x01,0x02]

v_and_b32_e64 v5, exec_hi, null
// GFX11: v_and_b32_e64 v5, exec_hi, null         ; encoding: [0x05,0x00,0x1b,0xd5,0x7f,0xf8,0x00,0x02]

v_and_b32_e64 v5, null, exec_lo
// GFX11: v_and_b32_e64 v5, null, exec_lo         ; encoding: [0x05,0x00,0x1b,0xd5,0x7c,0xfc,0x00,0x02]

v_and_b32_e64 v5, -1, exec_hi
// GFX11: v_and_b32_e64 v5, -1, exec_hi           ; encoding: [0x05,0x00,0x1b,0xd5,0xc1,0xfe,0x00,0x02]

v_and_b32_e64 v5, 0.5, m0
// GFX11: v_and_b32_e64 v5, 0.5, m0               ; encoding: [0x05,0x00,0x1b,0xd5,0xf0,0xfa,0x00,0x02]

v_and_b32_e64 v5, src_scc, vcc_lo
// GFX11: v_and_b32_e64 v5, src_scc, vcc_lo       ; encoding: [0x05,0x00,0x1b,0xd5,0xfd,0xd4,0x00,0x02]

v_and_b32_e64 v255, 0xaf123456, vcc_hi
// GFX11: v_and_b32_e64 v255, 0xaf123456, vcc_hi  ; encoding: [0xff,0x00,0x1b,0xd5,0xff,0xd6,0x00,0x02,0x56,0x34,0x12,0xaf]

v_ashrrev_i32_e64 v5, v1, v2
// GFX11: v_ashrrev_i32_e64 v5, v1, v2            ; encoding: [0x05,0x00,0x1a,0xd5,0x01,0x05,0x02,0x02]

v_ashrrev_i32_e64 v5, v255, v255
// GFX11: v_ashrrev_i32_e64 v5, v255, v255        ; encoding: [0x05,0x00,0x1a,0xd5,0xff,0xff,0x03,0x02]

v_ashrrev_i32_e64 v5, s1, s2
// GFX11: v_ashrrev_i32_e64 v5, s1, s2            ; encoding: [0x05,0x00,0x1a,0xd5,0x01,0x04,0x00,0x02]

v_ashrrev_i32_e64 v5, s105, s105
// GFX11: v_ashrrev_i32_e64 v5, s105, s105        ; encoding: [0x05,0x00,0x1a,0xd5,0x69,0xd2,0x00,0x02]

v_ashrrev_i32_e64 v5, vcc_lo, ttmp15
// GFX11: v_ashrrev_i32_e64 v5, vcc_lo, ttmp15    ; encoding: [0x05,0x00,0x1a,0xd5,0x6a,0xf6,0x00,0x02]

v_ashrrev_i32_e64 v5, vcc_hi, 0xaf123456
// GFX11: v_ashrrev_i32_e64 v5, vcc_hi, 0xaf123456 ; encoding: [0x05,0x00,0x1a,0xd5,0x6b,0xfe,0x01,0x02,0x56,0x34,0x12,0xaf]

v_ashrrev_i32_e64 v5, ttmp15, src_scc
// GFX11: v_ashrrev_i32_e64 v5, ttmp15, src_scc   ; encoding: [0x05,0x00,0x1a,0xd5,0x7b,0xfa,0x01,0x02]

v_ashrrev_i32_e64 v5, m0, 0.5
// GFX11: v_ashrrev_i32_e64 v5, m0, 0.5           ; encoding: [0x05,0x00,0x1a,0xd5,0x7d,0xe0,0x01,0x02]

v_ashrrev_i32_e64 v5, exec_lo, -1
// GFX11: v_ashrrev_i32_e64 v5, exec_lo, -1       ; encoding: [0x05,0x00,0x1a,0xd5,0x7e,0x82,0x01,0x02]

v_ashrrev_i32_e64 v5, exec_hi, null
// GFX11: v_ashrrev_i32_e64 v5, exec_hi, null     ; encoding: [0x05,0x00,0x1a,0xd5,0x7f,0xf8,0x00,0x02]

v_ashrrev_i32_e64 v5, null, exec_lo
// GFX11: v_ashrrev_i32_e64 v5, null, exec_lo     ; encoding: [0x05,0x00,0x1a,0xd5,0x7c,0xfc,0x00,0x02]

v_ashrrev_i32_e64 v5, -1, exec_hi
// GFX11: v_ashrrev_i32_e64 v5, -1, exec_hi       ; encoding: [0x05,0x00,0x1a,0xd5,0xc1,0xfe,0x00,0x02]

v_ashrrev_i32_e64 v5, 0.5, m0
// GFX11: v_ashrrev_i32_e64 v5, 0.5, m0           ; encoding: [0x05,0x00,0x1a,0xd5,0xf0,0xfa,0x00,0x02]

v_ashrrev_i32_e64 v5, src_scc, vcc_lo
// GFX11: v_ashrrev_i32_e64 v5, src_scc, vcc_lo   ; encoding: [0x05,0x00,0x1a,0xd5,0xfd,0xd4,0x00,0x02]

v_ashrrev_i32_e64 v255, 0xaf123456, vcc_hi
// GFX11: v_ashrrev_i32_e64 v255, 0xaf123456, vcc_hi ; encoding: [0xff,0x00,0x1a,0xd5,0xff,0xd6,0x00,0x02,0x56,0x34,0x12,0xaf]

v_cndmask_b32_e64 v5, v1, 0xaf123456, s3
// W32: v_cndmask_b32_e64 v5, v1, 0xaf123456, s3 ; encoding: [0x05,0x00,0x01,0xd5,0x01,0xff,0x0d,0x00,0x56,0x34,0x12,0xaf]
// W64-ERR: :[[@LINE-2]]:39: error: invalid operand for instruction

v_cndmask_b32_e64 v5, v255, src_scc, s3
// W32: v_cndmask_b32_e64 v5, v255, src_scc, s3 ; encoding: [0x05,0x00,0x01,0xd5,0xff,0xfb,0x0d,0x00]
// W64-ERR: :[[@LINE-2]]:38: error: invalid operand for instruction

v_cndmask_b32_e64 v5, s105, s105, s3
// W32: v_cndmask_b32_e64 v5, s105, s105, s3    ; encoding: [0x05,0x00,0x01,0xd5,0x69,0xd2,0x0c,0x00]
// W64-ERR: :[[@LINE-2]]:35: error: invalid operand for instruction

v_cndmask_b32_e64 v5, vcc_lo, v2, s3
// W32: v_cndmask_b32_e64 v5, vcc_lo, v2, s3    ; encoding: [0x05,0x00,0x01,0xd5,0x6a,0x04,0x0e,0x00]
// W64-ERR: :[[@LINE-2]]:35: error: invalid operand for instruction

v_cndmask_b32_e64 v5, vcc_hi, v255, s3
// W32: v_cndmask_b32_e64 v5, vcc_hi, v255, s3  ; encoding: [0x05,0x00,0x01,0xd5,0x6b,0xfe,0x0f,0x00]
// W64-ERR: :[[@LINE-2]]:37: error: invalid operand for instruction

v_cndmask_b32_e64 v5, ttmp15, ttmp15, s3
// W32: v_cndmask_b32_e64 v5, ttmp15, ttmp15, s3 ; encoding: [0x05,0x00,0x01,0xd5,0x7b,0xf6,0x0c,0x00]
// W64-ERR: :[[@LINE-2]]:39: error: invalid operand for instruction

v_cndmask_b32_e64 v5, m0, 0.5, s3
// W32: v_cndmask_b32_e64 v5, m0, 0.5, s3       ; encoding: [0x05,0x00,0x01,0xd5,0x7d,0xe0,0x0d,0x00]
// W64-ERR: :[[@LINE-2]]:32: error: invalid operand for instruction

v_cndmask_b32_e64 v5, exec_lo, exec_lo, s3
// W32: v_cndmask_b32_e64 v5, exec_lo, exec_lo, s3 ; encoding: [0x05,0x00,0x01,0xd5,0x7e,0xfc,0x0c,0x00]
// W64-ERR: :[[@LINE-2]]:41: error: invalid operand for instruction

v_cndmask_b32_e64 v5, exec_hi, -1, s3
// W32: v_cndmask_b32_e64 v5, exec_hi, -1, s3   ; encoding: [0x05,0x00,0x01,0xd5,0x7f,0x82,0x0d,0x00]
// W64-ERR: :[[@LINE-2]]:36: error: invalid operand for instruction

v_cndmask_b32_e64 v5, null, exec_hi, s105
// W32: v_cndmask_b32_e64 v5, null, exec_hi, s105 ; encoding: [0x05,0x00,0x01,0xd5,0x7c,0xfe,0xa4,0x01]
// W64-ERR: :[[@LINE-2]]:38: error: invalid operand for instruction

v_cndmask_b32_e64 v5, -1, m0, vcc_lo
// W32: v_cndmask_b32_e64 v5, -1, m0, vcc_lo    ; encoding: [0x05,0x00,0x01,0xd5,0xc1,0xfa,0xa8,0x01]
// W64-ERR: :[[@LINE-2]]:31: error: invalid operand for instruction

v_cndmask_b32_e64 v5, 0.5, -|vcc_lo|, vcc_hi
// W32: v_cndmask_b32_e64 v5, 0.5, -|vcc_lo|, vcc_hi ; encoding: [0x05,0x02,0x01,0xd5,0xf0,0xd4,0xac,0x41]
// W64-ERR: :[[@LINE-2]]:39: error: invalid operand for instruction

v_cndmask_b32_e64 v5, -|src_scc|, null, ttmp15
// W32: v_cndmask_b32_e64 v5, -|src_scc|, null, ttmp15 ; encoding: [0x05,0x01,0x01,0xd5,0xfd,0xf8,0xec,0x21]
// W64-ERR: :[[@LINE-2]]:41: error: invalid operand for instruction

v_cndmask_b32_e64 v5, v1, 0xaf123456, s[6:7]
// W32-ERR: :[[@LINE-1]]:39: error: invalid operand for instruction
// W64: v_cndmask_b32_e64 v5, v1, 0xaf123456, s[6:7] ; encoding: [0x05,0x00,0x01,0xd5,0x01,0xff,0x19,0x00,0x56,0x34,0x12,0xaf]

v_cndmask_b32_e64 v5, v255, src_scc, s[6:7]
// W32-ERR: :[[@LINE-1]]:38: error: invalid operand for instruction
// W64: v_cndmask_b32_e64 v5, v255, src_scc, s[6:7] ; encoding: [0x05,0x00,0x01,0xd5,0xff,0xfb,0x19,0x00]

v_cndmask_b32_e64 v5, s105, s105, s[6:7]
// W32-ERR: :[[@LINE-1]]:35: error: invalid operand for instruction
// W64: v_cndmask_b32_e64 v5, s105, s105, s[6:7] ; encoding: [0x05,0x00,0x01,0xd5,0x69,0xd2,0x18,0x00]

v_cndmask_b32_e64 v5, vcc_lo, v2, s[6:7]
// W32-ERR: :[[@LINE-1]]:35: error: invalid operand for instruction
// W64: v_cndmask_b32_e64 v5, vcc_lo, v2, s[6:7] ; encoding: [0x05,0x00,0x01,0xd5,0x6a,0x04,0x1a,0x00]

v_cndmask_b32_e64 v5, vcc_hi, v255, s[6:7]
// W32-ERR: :[[@LINE-1]]:37: error: invalid operand for instruction
// W64: v_cndmask_b32_e64 v5, vcc_hi, v255, s[6:7] ; encoding: [0x05,0x00,0x01,0xd5,0x6b,0xfe,0x1b,0x00]

v_cndmask_b32_e64 v5, ttmp15, ttmp15, s[6:7]
// W32-ERR: :[[@LINE-1]]:39: error: invalid operand for instruction
// W64: v_cndmask_b32_e64 v5, ttmp15, ttmp15, s[6:7] ; encoding: [0x05,0x00,0x01,0xd5,0x7b,0xf6,0x18,0x00]

v_cndmask_b32_e64 v5, m0, 0.5, s[6:7]
// W32-ERR: :[[@LINE-1]]:32: error: invalid operand for instruction
// W64: v_cndmask_b32_e64 v5, m0, 0.5, s[6:7]   ; encoding: [0x05,0x00,0x01,0xd5,0x7d,0xe0,0x19,0x00]

v_cndmask_b32_e64 v5, exec_lo, exec_lo, s[6:7]
// W32-ERR: :[[@LINE-1]]:41: error: invalid operand for instruction
// W64: v_cndmask_b32_e64 v5, exec_lo, exec_lo, s[6:7] ; encoding: [0x05,0x00,0x01,0xd5,0x7e,0xfc,0x18,0x00]

v_cndmask_b32_e64 v5, exec_hi, -1, s[6:7]
// W32-ERR: :[[@LINE-1]]:36: error: invalid operand for instruction
// W64: v_cndmask_b32_e64 v5, exec_hi, -1, s[6:7] ; encoding: [0x05,0x00,0x01,0xd5,0x7f,0x82,0x19,0x00]

v_cndmask_b32_e64 v5, null, exec_hi, s[6:7]
// W32-ERR: :[[@LINE-1]]:38: error: invalid operand for instruction
// W64: v_cndmask_b32_e64 v5, null, exec_hi, s[6:7] ; encoding: [0x05,0x00,0x01,0xd5,0x7c,0xfe,0x18,0x00]

v_cndmask_b32_e64 v5, -1, m0, s[104:105]
// W32-ERR: :[[@LINE-1]]:31: error: invalid operand for instruction
// W64: v_cndmask_b32_e64 v5, -1, m0, s[104:105] ; encoding: [0x05,0x00,0x01,0xd5,0xc1,0xfa,0xa0,0x01]

v_cndmask_b32_e64 v5, 0.5, -|vcc_lo|, vcc
// W32-ERR: :[[@LINE-1]]:39: error: invalid operand for instruction
// W64: v_cndmask_b32_e64 v5, 0.5, -|vcc_lo|, vcc ; encoding: [0x05,0x02,0x01,0xd5,0xf0,0xd4,0xa8,0x41]

v_cndmask_b32_e64 v5, -|src_scc|, null, ttmp[14:15]
// W32-ERR: :[[@LINE-1]]:41: error: invalid operand for instruction
// W64: v_cndmask_b32_e64 v5, -|src_scc|, null, ttmp[14:15] ; encoding: [0x05,0x01,0x01,0xd5,0xfd,0xf8,0xe8,0x21]

v_cndmask_b32_e64 v255, -|0xaf123456|, -|vcc_hi|, null
// GFX11: v_cndmask_b32_e64 v255, -|0xaf123456|, -|vcc_hi|, null ; encoding: [0xff,0x03,0x01,0xd5,0xff,0xd6,0xf0,0x61,0x56,0x34,0x12,0xaf]

v_cvt_pk_rtz_f16_f32_e64 v5, v1, v2
// GFX11: v_cvt_pk_rtz_f16_f32_e64 v5, v1, v2     ; encoding: [0x05,0x00,0x2f,0xd5,0x01,0x05,0x02,0x02]

v_cvt_pk_rtz_f16_f32_e64 v5, v255, v255
// GFX11: v_cvt_pk_rtz_f16_f32_e64 v5, v255, v255 ; encoding: [0x05,0x00,0x2f,0xd5,0xff,0xff,0x03,0x02]

v_cvt_pk_rtz_f16_f32_e64 v5, s1, s2
// GFX11: v_cvt_pk_rtz_f16_f32_e64 v5, s1, s2     ; encoding: [0x05,0x00,0x2f,0xd5,0x01,0x04,0x00,0x02]

v_cvt_pk_rtz_f16_f32_e64 v5, s105, s105
// GFX11: v_cvt_pk_rtz_f16_f32_e64 v5, s105, s105 ; encoding: [0x05,0x00,0x2f,0xd5,0x69,0xd2,0x00,0x02]

v_cvt_pk_rtz_f16_f32_e64 v5, vcc_lo, ttmp15
// GFX11: v_cvt_pk_rtz_f16_f32_e64 v5, vcc_lo, ttmp15 ; encoding: [0x05,0x00,0x2f,0xd5,0x6a,0xf6,0x00,0x02]

v_cvt_pk_rtz_f16_f32_e64 v5, vcc_hi, 0xaf123456
// GFX11: v_cvt_pk_rtz_f16_f32_e64 v5, vcc_hi, 0xaf123456 ; encoding: [0x05,0x00,0x2f,0xd5,0x6b,0xfe,0x01,0x02,0x56,0x34,0x12,0xaf]

v_cvt_pk_rtz_f16_f32_e64 v5, ttmp15, src_scc
// GFX11: v_cvt_pk_rtz_f16_f32_e64 v5, ttmp15, src_scc ; encoding: [0x05,0x00,0x2f,0xd5,0x7b,0xfa,0x01,0x02]

v_cvt_pk_rtz_f16_f32_e64 v5, m0, 0.5
// GFX11: v_cvt_pk_rtz_f16_f32_e64 v5, m0, 0.5    ; encoding: [0x05,0x00,0x2f,0xd5,0x7d,0xe0,0x01,0x02]

v_cvt_pk_rtz_f16_f32_e64 v5, exec_lo, -1
// GFX11: v_cvt_pk_rtz_f16_f32_e64 v5, exec_lo, -1 ; encoding: [0x05,0x00,0x2f,0xd5,0x7e,0x82,0x01,0x02]

v_cvt_pk_rtz_f16_f32_e64 v5, |exec_hi|, null
// GFX11: v_cvt_pk_rtz_f16_f32_e64 v5, |exec_hi|, null ; encoding: [0x05,0x01,0x2f,0xd5,0x7f,0xf8,0x00,0x02]

v_cvt_pk_rtz_f16_f32_e64 v5, null, exec_lo
// GFX11: v_cvt_pk_rtz_f16_f32_e64 v5, null, exec_lo ; encoding: [0x05,0x00,0x2f,0xd5,0x7c,0xfc,0x00,0x02]

v_cvt_pk_rtz_f16_f32_e64 v5, -1, exec_hi
// GFX11: v_cvt_pk_rtz_f16_f32_e64 v5, -1, exec_hi ; encoding: [0x05,0x00,0x2f,0xd5,0xc1,0xfe,0x00,0x02]

v_cvt_pk_rtz_f16_f32_e64 v5, 0.5, -m0
// GFX11: v_cvt_pk_rtz_f16_f32_e64 v5, 0.5, -m0   ; encoding: [0x05,0x00,0x2f,0xd5,0xf0,0xfa,0x00,0x42]

v_cvt_pk_rtz_f16_f32_e64 v5, -src_scc, |vcc_lo|
// GFX11: v_cvt_pk_rtz_f16_f32_e64 v5, -src_scc, |vcc_lo| ; encoding: [0x05,0x02,0x2f,0xd5,0xfd,0xd4,0x00,0x22]

v_cvt_pk_rtz_f16_f32_e64 v255, -|0xaf123456|, -|vcc_hi| clamp
// GFX11: v_cvt_pk_rtz_f16_f32_e64 v255, -|0xaf123456|, -|vcc_hi| clamp ; encoding: [0xff,0x83,0x2f,0xd5,0xff,0xd6,0x00,0x62,0x56,0x34,0x12,0xaf]

v_cvt_pkrtz_f16_f32_e64 v5, v1, v2
// GFX11: v_cvt_pk_rtz_f16_f32_e64 v5, v1, v2     ; encoding: [0x05,0x00,0x2f,0xd5,0x01,0x05,0x02,0x02]

v_cvt_pkrtz_f16_f32_e64 v5, v255, v255
// GFX11: v_cvt_pk_rtz_f16_f32_e64 v5, v255, v255 ; encoding: [0x05,0x00,0x2f,0xd5,0xff,0xff,0x03,0x02]

v_cvt_pkrtz_f16_f32_e64 v5, s1, s2
// GFX11: v_cvt_pk_rtz_f16_f32_e64 v5, s1, s2     ; encoding: [0x05,0x00,0x2f,0xd5,0x01,0x04,0x00,0x02]

v_cvt_pkrtz_f16_f32_e64 v5, s105, s105
// GFX11: v_cvt_pk_rtz_f16_f32_e64 v5, s105, s105 ; encoding: [0x05,0x00,0x2f,0xd5,0x69,0xd2,0x00,0x02]

v_cvt_pkrtz_f16_f32_e64 v5, vcc_lo, ttmp15
// GFX11: v_cvt_pk_rtz_f16_f32_e64 v5, vcc_lo, ttmp15 ; encoding: [0x05,0x00,0x2f,0xd5,0x6a,0xf6,0x00,0x02]

v_cvt_pkrtz_f16_f32_e64 v5, vcc_hi, 0xaf123456
// GFX11: v_cvt_pk_rtz_f16_f32_e64 v5, vcc_hi, 0xaf123456 ; encoding: [0x05,0x00,0x2f,0xd5,0x6b,0xfe,0x01,0x02,0x56,0x34,0x12,0xaf]

v_cvt_pkrtz_f16_f32_e64 v5, ttmp15, src_scc
// GFX11: v_cvt_pk_rtz_f16_f32_e64 v5, ttmp15, src_scc ; encoding: [0x05,0x00,0x2f,0xd5,0x7b,0xfa,0x01,0x02]

v_cvt_pkrtz_f16_f32_e64 v5, m0, 0.5
// GFX11: v_cvt_pk_rtz_f16_f32_e64 v5, m0, 0.5    ; encoding: [0x05,0x00,0x2f,0xd5,0x7d,0xe0,0x01,0x02]

v_cvt_pkrtz_f16_f32_e64 v5, exec_lo, -1
// GFX11: v_cvt_pk_rtz_f16_f32_e64 v5, exec_lo, -1 ; encoding: [0x05,0x00,0x2f,0xd5,0x7e,0x82,0x01,0x02]

v_cvt_pkrtz_f16_f32_e64 v5, |exec_hi|, null
// GFX11: v_cvt_pk_rtz_f16_f32_e64 v5, |exec_hi|, null ; encoding: [0x05,0x01,0x2f,0xd5,0x7f,0xf8,0x00,0x02]

v_cvt_pkrtz_f16_f32_e64 v5, null, exec_lo
// GFX11: v_cvt_pk_rtz_f16_f32_e64 v5, null, exec_lo ; encoding: [0x05,0x00,0x2f,0xd5,0x7c,0xfc,0x00,0x02]

v_cvt_pkrtz_f16_f32_e64 v5, -1, exec_hi
// GFX11: v_cvt_pk_rtz_f16_f32_e64 v5, -1, exec_hi ; encoding: [0x05,0x00,0x2f,0xd5,0xc1,0xfe,0x00,0x02]

v_cvt_pkrtz_f16_f32_e64 v5, 0.5, -m0
// GFX11: v_cvt_pk_rtz_f16_f32_e64 v5, 0.5, -m0   ; encoding: [0x05,0x00,0x2f,0xd5,0xf0,0xfa,0x00,0x42]

v_cvt_pkrtz_f16_f32_e64 v5, -src_scc, |vcc_lo|
// GFX11: v_cvt_pk_rtz_f16_f32_e64 v5, -src_scc, |vcc_lo| ; encoding: [0x05,0x02,0x2f,0xd5,0xfd,0xd4,0x00,0x22]

v_cvt_pkrtz_f16_f32_e64 v255, -|0xaf123456|, -|vcc_hi| clamp
// GFX11: v_cvt_pk_rtz_f16_f32_e64 v255, -|0xaf123456|, -|vcc_hi| clamp ; encoding: [0xff,0x83,0x2f,0xd5,0xff,0xd6,0x00,0x62,0x56,0x34,0x12,0xaf]

v_fmac_dx9_zero_f32_e64 v5, v1, v2
// GFX11: v_fmac_dx9_zero_f32_e64 v5, v1, v2      ; encoding: [0x05,0x00,0x06,0xd5,0x01,0x05,0x02,0x02]

v_fmac_dx9_zero_f32_e64 v5, v255, v255
// GFX11: v_fmac_dx9_zero_f32_e64 v5, v255, v255  ; encoding: [0x05,0x00,0x06,0xd5,0xff,0xff,0x03,0x02]

v_fmac_dx9_zero_f32_e64 v5, s1, s2
// GFX11: v_fmac_dx9_zero_f32_e64 v5, s1, s2      ; encoding: [0x05,0x00,0x06,0xd5,0x01,0x04,0x00,0x02]

v_fmac_dx9_zero_f32_e64 v5, s105, s105
// GFX11: v_fmac_dx9_zero_f32_e64 v5, s105, s105  ; encoding: [0x05,0x00,0x06,0xd5,0x69,0xd2,0x00,0x02]

v_fmac_dx9_zero_f32_e64 v5, vcc_lo, ttmp15
// GFX11: v_fmac_dx9_zero_f32_e64 v5, vcc_lo, ttmp15 ; encoding: [0x05,0x00,0x06,0xd5,0x6a,0xf6,0x00,0x02]

v_fmac_dx9_zero_f32_e64 v5, vcc_hi, 0xaf123456
// GFX11: v_fmac_dx9_zero_f32_e64 v5, vcc_hi, 0xaf123456 ; encoding: [0x05,0x00,0x06,0xd5,0x6b,0xfe,0x01,0x02,0x56,0x34,0x12,0xaf]

v_fmac_dx9_zero_f32_e64 v5, ttmp15, src_scc
// GFX11: v_fmac_dx9_zero_f32_e64 v5, ttmp15, src_scc ; encoding: [0x05,0x00,0x06,0xd5,0x7b,0xfa,0x01,0x02]

v_fmac_dx9_zero_f32_e64 v5, m0, 0.5
// GFX11: v_fmac_dx9_zero_f32_e64 v5, m0, 0.5     ; encoding: [0x05,0x00,0x06,0xd5,0x7d,0xe0,0x01,0x02]

v_fmac_dx9_zero_f32_e64 v5, exec_lo, -1
// GFX11: v_fmac_dx9_zero_f32_e64 v5, exec_lo, -1 ; encoding: [0x05,0x00,0x06,0xd5,0x7e,0x82,0x01,0x02]

v_fmac_dx9_zero_f32_e64 v5, |exec_hi|, null
// GFX11: v_fmac_dx9_zero_f32_e64 v5, |exec_hi|, null ; encoding: [0x05,0x01,0x06,0xd5,0x7f,0xf8,0x00,0x02]

v_fmac_dx9_zero_f32_e64 v5, null, exec_lo
// GFX11: v_fmac_dx9_zero_f32_e64 v5, null, exec_lo ; encoding: [0x05,0x00,0x06,0xd5,0x7c,0xfc,0x00,0x02]

v_fmac_dx9_zero_f32_e64 v5, -1, exec_hi
// GFX11: v_fmac_dx9_zero_f32_e64 v5, -1, exec_hi ; encoding: [0x05,0x00,0x06,0xd5,0xc1,0xfe,0x00,0x02]

v_fmac_dx9_zero_f32_e64 v5, 0.5, -m0 mul:2
// GFX11: v_fmac_dx9_zero_f32_e64 v5, 0.5, -m0 mul:2 ; encoding: [0x05,0x00,0x06,0xd5,0xf0,0xfa,0x00,0x4a]

v_fmac_dx9_zero_f32_e64 v5, -src_scc, |vcc_lo| mul:4
// GFX11: v_fmac_dx9_zero_f32_e64 v5, -src_scc, |vcc_lo| mul:4 ; encoding: [0x05,0x02,0x06,0xd5,0xfd,0xd4,0x00,0x32]

v_fmac_dx9_zero_f32_e64 v255, -|0xaf123456|, -|vcc_hi| clamp div:2
// GFX11: v_fmac_dx9_zero_f32_e64 v255, -|0xaf123456|, -|vcc_hi| clamp div:2 ; encoding: [0xff,0x83,0x06,0xd5,0xff,0xd6,0x00,0x7a,0x56,0x34,0x12,0xaf]

v_fmac_f16_e64 v5.l, v1.l, v2.l
// GFX11: v_fmac_f16_e64 v5.l, v1.l, v2.l         ; encoding: [0x05,0x00,0x36,0xd5,0x01,0x05,0x02,0x02]

v_fmac_f16_e64 v5.l, v255.l, v255.l
// GFX11: v_fmac_f16_e64 v5.l, v255.l, v255.l     ; encoding: [0x05,0x00,0x36,0xd5,0xff,0xff,0x03,0x02]

v_fmac_f16_e64 v5.l, s1, s2
// GFX11: v_fmac_f16_e64 v5.l, s1, s2             ; encoding: [0x05,0x00,0x36,0xd5,0x01,0x04,0x00,0x02]

v_fmac_f16_e64 v5.l, s105, s105
// GFX11: v_fmac_f16_e64 v5.l, s105, s105         ; encoding: [0x05,0x00,0x36,0xd5,0x69,0xd2,0x00,0x02]

v_fmac_f16_e64 v5.l, vcc_lo, ttmp15
// GFX11: v_fmac_f16_e64 v5.l, vcc_lo, ttmp15     ; encoding: [0x05,0x00,0x36,0xd5,0x6a,0xf6,0x00,0x02]

v_fmac_f16_e64 v5.l, vcc_hi, 0xfe0b
// GFX11: v_fmac_f16_e64 v5.l, vcc_hi, 0xfe0b     ; encoding: [0x05,0x00,0x36,0xd5,0x6b,0xfe,0x01,0x02,0x0b,0xfe,0x00,0x00]

v_fmac_f16_e64 v5.l, ttmp15, src_scc
// GFX11: v_fmac_f16_e64 v5.l, ttmp15, src_scc    ; encoding: [0x05,0x00,0x36,0xd5,0x7b,0xfa,0x01,0x02]

v_fmac_f16_e64 v5.l, m0, 0.5
// GFX11: v_fmac_f16_e64 v5.l, m0, 0.5            ; encoding: [0x05,0x00,0x36,0xd5,0x7d,0xe0,0x01,0x02]

v_fmac_f16_e64 v5.l, exec_lo, -1
// GFX11: v_fmac_f16_e64 v5.l, exec_lo, -1        ; encoding: [0x05,0x00,0x36,0xd5,0x7e,0x82,0x01,0x02]

v_fmac_f16_e64 v5.l, |exec_hi|, null
// GFX11: v_fmac_f16_e64 v5.l, |exec_hi|, null    ; encoding: [0x05,0x01,0x36,0xd5,0x7f,0xf8,0x00,0x02]

v_fmac_f16_e64 v5.l, null, exec_lo
// GFX11: v_fmac_f16_e64 v5.l, null, exec_lo      ; encoding: [0x05,0x00,0x36,0xd5,0x7c,0xfc,0x00,0x02]

v_fmac_f16_e64 v5.l, -1, exec_hi
// GFX11: v_fmac_f16_e64 v5.l, -1, exec_hi        ; encoding: [0x05,0x00,0x36,0xd5,0xc1,0xfe,0x00,0x02]

v_fmac_f16_e64 v5.l, 0.5, -m0 mul:2
// GFX11: v_fmac_f16_e64 v5.l, 0.5, -m0 mul:2     ; encoding: [0x05,0x00,0x36,0xd5,0xf0,0xfa,0x00,0x4a]

v_fmac_f16_e64 v5.l, -src_scc, |vcc_lo| mul:4
// GFX11: v_fmac_f16_e64 v5.l, -src_scc, |vcc_lo| mul:4 ; encoding: [0x05,0x02,0x36,0xd5,0xfd,0xd4,0x00,0x32]

v_fmac_f16_e64 v255.l, -|0xfe0b|, -|vcc_hi| clamp div:2
// GFX11: v_fmac_f16_e64 v255.l, -|0xfe0b|, -|vcc_hi| clamp div:2 ; encoding: [0xff,0x83,0x36,0xd5,0xff,0xd6,0x00,0x7a,0x0b,0xfe,0x00,0x00]

v_fmac_f16_e64 v5.l, v1.h, v2.l
// GFX11: v_fmac_f16_e64 v5.l, v1.h, v2.l op_sel:[1,0,0,0] ; encoding: [0x05,0x08,0x36,0xd5,0x01,0x05,0x02,0x02]

v_fmac_f16_e64 v5.l, v255.l, v255.h
// GFX11: v_fmac_f16_e64 v5.l, v255.l, v255.h op_sel:[0,1,0,0] ; encoding: [0x05,0x10,0x36,0xd5,0xff,0xff,0x03,0x02]

v_fmac_f16_e64 v255.h, -|0xfe0b|, -|vcc_hi| clamp div:2
// GFX11: v_fmac_f16_e64 v255.h, -|0xfe0b|, -|vcc_hi| op_sel:[0,0,1,1] clamp div:2 ; encoding: [0xff,0xc3,0x36,0xd5,0xff,0xd6,0x00,0x7a,0x0b,0xfe,0x00,0x00]

v_fmac_f32_e64 v5, v1, v2
// GFX11: v_fmac_f32_e64 v5, v1, v2               ; encoding: [0x05,0x00,0x2b,0xd5,0x01,0x05,0x02,0x02]

v_fmac_f32_e64 v5, v255, v255
// GFX11: v_fmac_f32_e64 v5, v255, v255           ; encoding: [0x05,0x00,0x2b,0xd5,0xff,0xff,0x03,0x02]

v_fmac_f32_e64 v5, s1, s2
// GFX11: v_fmac_f32_e64 v5, s1, s2               ; encoding: [0x05,0x00,0x2b,0xd5,0x01,0x04,0x00,0x02]

v_fmac_f32_e64 v5, s105, s105
// GFX11: v_fmac_f32_e64 v5, s105, s105           ; encoding: [0x05,0x00,0x2b,0xd5,0x69,0xd2,0x00,0x02]

v_fmac_f32_e64 v5, vcc_lo, ttmp15
// GFX11: v_fmac_f32_e64 v5, vcc_lo, ttmp15       ; encoding: [0x05,0x00,0x2b,0xd5,0x6a,0xf6,0x00,0x02]

v_fmac_f32_e64 v5, vcc_hi, 0xaf123456
// GFX11: v_fmac_f32_e64 v5, vcc_hi, 0xaf123456   ; encoding: [0x05,0x00,0x2b,0xd5,0x6b,0xfe,0x01,0x02,0x56,0x34,0x12,0xaf]

v_fmac_f32_e64 v5, ttmp15, src_scc
// GFX11: v_fmac_f32_e64 v5, ttmp15, src_scc      ; encoding: [0x05,0x00,0x2b,0xd5,0x7b,0xfa,0x01,0x02]

v_fmac_f32_e64 v5, m0, 0.5
// GFX11: v_fmac_f32_e64 v5, m0, 0.5              ; encoding: [0x05,0x00,0x2b,0xd5,0x7d,0xe0,0x01,0x02]

v_fmac_f32_e64 v5, exec_lo, -1
// GFX11: v_fmac_f32_e64 v5, exec_lo, -1          ; encoding: [0x05,0x00,0x2b,0xd5,0x7e,0x82,0x01,0x02]

v_fmac_f32_e64 v5, |exec_hi|, null
// GFX11: v_fmac_f32_e64 v5, |exec_hi|, null      ; encoding: [0x05,0x01,0x2b,0xd5,0x7f,0xf8,0x00,0x02]

v_fmac_f32_e64 v5, null, exec_lo
// GFX11: v_fmac_f32_e64 v5, null, exec_lo        ; encoding: [0x05,0x00,0x2b,0xd5,0x7c,0xfc,0x00,0x02]

v_fmac_f32_e64 v5, -1, exec_hi
// GFX11: v_fmac_f32_e64 v5, -1, exec_hi          ; encoding: [0x05,0x00,0x2b,0xd5,0xc1,0xfe,0x00,0x02]

v_fmac_f32_e64 v5, 0.5, -m0 mul:2
// GFX11: v_fmac_f32_e64 v5, 0.5, -m0 mul:2       ; encoding: [0x05,0x00,0x2b,0xd5,0xf0,0xfa,0x00,0x4a]

v_fmac_f32_e64 v5, -src_scc, |vcc_lo| mul:4
// GFX11: v_fmac_f32_e64 v5, -src_scc, |vcc_lo| mul:4 ; encoding: [0x05,0x02,0x2b,0xd5,0xfd,0xd4,0x00,0x32]

v_fmac_f32_e64 v255, -|0xaf123456|, -|vcc_hi| clamp div:2
// GFX11: v_fmac_f32_e64 v255, -|0xaf123456|, -|vcc_hi| clamp div:2 ; encoding: [0xff,0x83,0x2b,0xd5,0xff,0xd6,0x00,0x7a,0x56,0x34,0x12,0xaf]

v_fmac_legacy_f32_e64 v5, v1, v2
// GFX11: v_fmac_dx9_zero_f32_e64 v5, v1, v2      ; encoding: [0x05,0x00,0x06,0xd5,0x01,0x05,0x02,0x02]

v_fmac_legacy_f32_e64 v5, v255, v255
// GFX11: v_fmac_dx9_zero_f32_e64 v5, v255, v255  ; encoding: [0x05,0x00,0x06,0xd5,0xff,0xff,0x03,0x02]

v_fmac_legacy_f32_e64 v5, s1, s2
// GFX11: v_fmac_dx9_zero_f32_e64 v5, s1, s2      ; encoding: [0x05,0x00,0x06,0xd5,0x01,0x04,0x00,0x02]

v_fmac_legacy_f32_e64 v5, s105, s105
// GFX11: v_fmac_dx9_zero_f32_e64 v5, s105, s105  ; encoding: [0x05,0x00,0x06,0xd5,0x69,0xd2,0x00,0x02]

v_fmac_legacy_f32_e64 v5, vcc_lo, ttmp15
// GFX11: v_fmac_dx9_zero_f32_e64 v5, vcc_lo, ttmp15 ; encoding: [0x05,0x00,0x06,0xd5,0x6a,0xf6,0x00,0x02]

v_fmac_legacy_f32_e64 v5, vcc_hi, 0xaf123456
// GFX11: v_fmac_dx9_zero_f32_e64 v5, vcc_hi, 0xaf123456 ; encoding: [0x05,0x00,0x06,0xd5,0x6b,0xfe,0x01,0x02,0x56,0x34,0x12,0xaf]

v_fmac_legacy_f32_e64 v5, ttmp15, src_scc
// GFX11: v_fmac_dx9_zero_f32_e64 v5, ttmp15, src_scc ; encoding: [0x05,0x00,0x06,0xd5,0x7b,0xfa,0x01,0x02]

v_fmac_legacy_f32_e64 v5, m0, 0.5
// GFX11: v_fmac_dx9_zero_f32_e64 v5, m0, 0.5     ; encoding: [0x05,0x00,0x06,0xd5,0x7d,0xe0,0x01,0x02]

v_fmac_legacy_f32_e64 v5, exec_lo, -1
// GFX11: v_fmac_dx9_zero_f32_e64 v5, exec_lo, -1 ; encoding: [0x05,0x00,0x06,0xd5,0x7e,0x82,0x01,0x02]

v_fmac_legacy_f32_e64 v5, |exec_hi|, null
// GFX11: v_fmac_dx9_zero_f32_e64 v5, |exec_hi|, null ; encoding: [0x05,0x01,0x06,0xd5,0x7f,0xf8,0x00,0x02]

v_fmac_legacy_f32_e64 v5, null, exec_lo
// GFX11: v_fmac_dx9_zero_f32_e64 v5, null, exec_lo ; encoding: [0x05,0x00,0x06,0xd5,0x7c,0xfc,0x00,0x02]

v_fmac_legacy_f32_e64 v5, -1, exec_hi
// GFX11: v_fmac_dx9_zero_f32_e64 v5, -1, exec_hi ; encoding: [0x05,0x00,0x06,0xd5,0xc1,0xfe,0x00,0x02]

v_fmac_legacy_f32_e64 v5, 0.5, -m0 mul:2
// GFX11: v_fmac_dx9_zero_f32_e64 v5, 0.5, -m0 mul:2 ; encoding: [0x05,0x00,0x06,0xd5,0xf0,0xfa,0x00,0x4a]

v_fmac_legacy_f32_e64 v5, -src_scc, |vcc_lo| mul:4
// GFX11: v_fmac_dx9_zero_f32_e64 v5, -src_scc, |vcc_lo| mul:4 ; encoding: [0x05,0x02,0x06,0xd5,0xfd,0xd4,0x00,0x32]

v_fmac_legacy_f32_e64 v255, -|0xaf123456|, -|vcc_hi| clamp div:2
// GFX11: v_fmac_dx9_zero_f32_e64 v255, -|0xaf123456|, -|vcc_hi| clamp div:2 ; encoding: [0xff,0x83,0x06,0xd5,0xff,0xd6,0x00,0x7a,0x56,0x34,0x12,0xaf]

v_ldexp_f16_e64 v5.l, v1.l, v2.l
// GFX11: v_ldexp_f16_e64 v5.l, v1.l, v2.l        ; encoding: [0x05,0x00,0x3b,0xd5,0x01,0x05,0x02,0x02]

v_ldexp_f16_e64 v5.l, v255.l, v255.l
// GFX11: v_ldexp_f16_e64 v5.l, v255.l, v255.l    ; encoding: [0x05,0x00,0x3b,0xd5,0xff,0xff,0x03,0x02]

v_ldexp_f16_e64 v5.l, s1, s2
// GFX11: v_ldexp_f16_e64 v5.l, s1, s2            ; encoding: [0x05,0x00,0x3b,0xd5,0x01,0x04,0x00,0x02]

v_ldexp_f16_e64 v5.l, s105, s105
// GFX11: v_ldexp_f16_e64 v5.l, s105, s105        ; encoding: [0x05,0x00,0x3b,0xd5,0x69,0xd2,0x00,0x02]

v_ldexp_f16_e64 v5.l, vcc_lo, ttmp15
// GFX11: v_ldexp_f16_e64 v5.l, vcc_lo, ttmp15    ; encoding: [0x05,0x00,0x3b,0xd5,0x6a,0xf6,0x00,0x02]

v_ldexp_f16_e64 v5.l, vcc_hi, 0xfe0b
// GFX11: v_ldexp_f16_e64 v5.l, vcc_hi, 0xfe0b    ; encoding: [0x05,0x00,0x3b,0xd5,0x6b,0xfe,0x01,0x02,0x0b,0xfe,0x00,0x00]

v_ldexp_f16_e64 v5.l, ttmp15, src_scc
// GFX11: v_ldexp_f16_e64 v5.l, ttmp15, src_scc   ; encoding: [0x05,0x00,0x3b,0xd5,0x7b,0xfa,0x01,0x02]

v_ldexp_f16_e64 v5.l, m0, 0.5
// GFX11: v_ldexp_f16_e64 v5.l, m0, 0.5           ; encoding: [0x05,0x00,0x3b,0xd5,0x7d,0xe0,0x01,0x02]

v_ldexp_f16_e64 v5.l, exec_lo, -1
// GFX11: v_ldexp_f16_e64 v5.l, exec_lo, -1       ; encoding: [0x05,0x00,0x3b,0xd5,0x7e,0x82,0x01,0x02]

v_ldexp_f16_e64 v5.l, exec_hi, null
// GFX11: v_ldexp_f16_e64 v5.l, exec_hi, null     ; encoding: [0x05,0x00,0x3b,0xd5,0x7f,0xf8,0x00,0x02]

v_ldexp_f16_e64 v5.l, null, exec_lo
// GFX11: v_ldexp_f16_e64 v5.l, null, exec_lo     ; encoding: [0x05,0x00,0x3b,0xd5,0x7c,0xfc,0x00,0x02]

v_ldexp_f16_e64 v5.l, -1, exec_hi
// GFX11: v_ldexp_f16_e64 v5.l, -1, exec_hi       ; encoding: [0x05,0x00,0x3b,0xd5,0xc1,0xfe,0x00,0x02]

v_ldexp_f16_e64 v5.l, 0.5, m0 mul:2
// GFX11: v_ldexp_f16_e64 v5.l, 0.5, m0 mul:2     ; encoding: [0x05,0x00,0x3b,0xd5,0xf0,0xfa,0x00,0x0a]

v_ldexp_f16_e64 v5.l, src_scc, vcc_lo mul:4
// GFX11: v_ldexp_f16_e64 v5.l, src_scc, vcc_lo mul:4 ; encoding: [0x05,0x00,0x3b,0xd5,0xfd,0xd4,0x00,0x12]

v_ldexp_f16_e64 v255.l, -|0xfe0b|, vcc_hi clamp div:2
// GFX11: v_ldexp_f16_e64 v255.l, -|0xfe0b|, vcc_hi clamp div:2 ; encoding: [0xff,0x81,0x3b,0xd5,0xff,0xd6,0x00,0x3a,0x0b,0xfe,0x00,0x00]

v_ldexp_f16_e64 v5.l, v1.h, v2.l
// GFX11: v_ldexp_f16_e64 v5.l, v1.h, v2.l op_sel:[1,0,0] ; encoding: [0x05,0x08,0x3b,0xd5,0x01,0x05,0x02,0x02]

v_ldexp_f16_e64 v5.l, v255.l, v255.h
// GFX11: v_ldexp_f16_e64 v5.l, v255.l, v255.h op_sel:[0,1,0] ; encoding: [0x05,0x10,0x3b,0xd5,0xff,0xff,0x03,0x02]

v_ldexp_f16_e64 v255.h, -|0xfe0b|, vcc_hi clamp div:2
// GFX11: v_ldexp_f16_e64 v255.h, -|0xfe0b|, vcc_hi op_sel:[0,0,1] clamp div:2 ; encoding: [0xff,0xc1,0x3b,0xd5,0xff,0xd6,0x00,0x3a,0x0b,0xfe,0x00,0x00]

v_lshlrev_b32_e64 v5, v1, v2
// GFX11: v_lshlrev_b32_e64 v5, v1, v2            ; encoding: [0x05,0x00,0x18,0xd5,0x01,0x05,0x02,0x02]

v_lshlrev_b32_e64 v5, v255, v255
// GFX11: v_lshlrev_b32_e64 v5, v255, v255        ; encoding: [0x05,0x00,0x18,0xd5,0xff,0xff,0x03,0x02]

v_lshlrev_b32_e64 v5, s1, s2
// GFX11: v_lshlrev_b32_e64 v5, s1, s2            ; encoding: [0x05,0x00,0x18,0xd5,0x01,0x04,0x00,0x02]

v_lshlrev_b32_e64 v5, s105, s105
// GFX11: v_lshlrev_b32_e64 v5, s105, s105        ; encoding: [0x05,0x00,0x18,0xd5,0x69,0xd2,0x00,0x02]

v_lshlrev_b32_e64 v5, vcc_lo, ttmp15
// GFX11: v_lshlrev_b32_e64 v5, vcc_lo, ttmp15    ; encoding: [0x05,0x00,0x18,0xd5,0x6a,0xf6,0x00,0x02]

v_lshlrev_b32_e64 v5, vcc_hi, 0xaf123456
// GFX11: v_lshlrev_b32_e64 v5, vcc_hi, 0xaf123456 ; encoding: [0x05,0x00,0x18,0xd5,0x6b,0xfe,0x01,0x02,0x56,0x34,0x12,0xaf]

v_lshlrev_b32_e64 v5, ttmp15, src_scc
// GFX11: v_lshlrev_b32_e64 v5, ttmp15, src_scc   ; encoding: [0x05,0x00,0x18,0xd5,0x7b,0xfa,0x01,0x02]

v_lshlrev_b32_e64 v5, m0, 0.5
// GFX11: v_lshlrev_b32_e64 v5, m0, 0.5           ; encoding: [0x05,0x00,0x18,0xd5,0x7d,0xe0,0x01,0x02]

v_lshlrev_b32_e64 v5, exec_lo, -1
// GFX11: v_lshlrev_b32_e64 v5, exec_lo, -1       ; encoding: [0x05,0x00,0x18,0xd5,0x7e,0x82,0x01,0x02]

v_lshlrev_b32_e64 v5, exec_hi, null
// GFX11: v_lshlrev_b32_e64 v5, exec_hi, null     ; encoding: [0x05,0x00,0x18,0xd5,0x7f,0xf8,0x00,0x02]

v_lshlrev_b32_e64 v5, null, exec_lo
// GFX11: v_lshlrev_b32_e64 v5, null, exec_lo     ; encoding: [0x05,0x00,0x18,0xd5,0x7c,0xfc,0x00,0x02]

v_lshlrev_b32_e64 v5, -1, exec_hi
// GFX11: v_lshlrev_b32_e64 v5, -1, exec_hi       ; encoding: [0x05,0x00,0x18,0xd5,0xc1,0xfe,0x00,0x02]

v_lshlrev_b32_e64 v5, 0.5, m0
// GFX11: v_lshlrev_b32_e64 v5, 0.5, m0           ; encoding: [0x05,0x00,0x18,0xd5,0xf0,0xfa,0x00,0x02]

v_lshlrev_b32_e64 v5, src_scc, vcc_lo
// GFX11: v_lshlrev_b32_e64 v5, src_scc, vcc_lo   ; encoding: [0x05,0x00,0x18,0xd5,0xfd,0xd4,0x00,0x02]

v_lshlrev_b32_e64 v255, 0xaf123456, vcc_hi
// GFX11: v_lshlrev_b32_e64 v255, 0xaf123456, vcc_hi ; encoding: [0xff,0x00,0x18,0xd5,0xff,0xd6,0x00,0x02,0x56,0x34,0x12,0xaf]

v_lshrrev_b32_e64 v5, v1, v2
// GFX11: v_lshrrev_b32_e64 v5, v1, v2            ; encoding: [0x05,0x00,0x19,0xd5,0x01,0x05,0x02,0x02]

v_lshrrev_b32_e64 v5, v255, v255
// GFX11: v_lshrrev_b32_e64 v5, v255, v255        ; encoding: [0x05,0x00,0x19,0xd5,0xff,0xff,0x03,0x02]

v_lshrrev_b32_e64 v5, s1, s2
// GFX11: v_lshrrev_b32_e64 v5, s1, s2            ; encoding: [0x05,0x00,0x19,0xd5,0x01,0x04,0x00,0x02]

v_lshrrev_b32_e64 v5, s105, s105
// GFX11: v_lshrrev_b32_e64 v5, s105, s105        ; encoding: [0x05,0x00,0x19,0xd5,0x69,0xd2,0x00,0x02]

v_lshrrev_b32_e64 v5, vcc_lo, ttmp15
// GFX11: v_lshrrev_b32_e64 v5, vcc_lo, ttmp15    ; encoding: [0x05,0x00,0x19,0xd5,0x6a,0xf6,0x00,0x02]

v_lshrrev_b32_e64 v5, vcc_hi, 0xaf123456
// GFX11: v_lshrrev_b32_e64 v5, vcc_hi, 0xaf123456 ; encoding: [0x05,0x00,0x19,0xd5,0x6b,0xfe,0x01,0x02,0x56,0x34,0x12,0xaf]

v_lshrrev_b32_e64 v5, ttmp15, src_scc
// GFX11: v_lshrrev_b32_e64 v5, ttmp15, src_scc   ; encoding: [0x05,0x00,0x19,0xd5,0x7b,0xfa,0x01,0x02]

v_lshrrev_b32_e64 v5, m0, 0.5
// GFX11: v_lshrrev_b32_e64 v5, m0, 0.5           ; encoding: [0x05,0x00,0x19,0xd5,0x7d,0xe0,0x01,0x02]

v_lshrrev_b32_e64 v5, exec_lo, -1
// GFX11: v_lshrrev_b32_e64 v5, exec_lo, -1       ; encoding: [0x05,0x00,0x19,0xd5,0x7e,0x82,0x01,0x02]

v_lshrrev_b32_e64 v5, exec_hi, null
// GFX11: v_lshrrev_b32_e64 v5, exec_hi, null     ; encoding: [0x05,0x00,0x19,0xd5,0x7f,0xf8,0x00,0x02]

v_lshrrev_b32_e64 v5, null, exec_lo
// GFX11: v_lshrrev_b32_e64 v5, null, exec_lo     ; encoding: [0x05,0x00,0x19,0xd5,0x7c,0xfc,0x00,0x02]

v_lshrrev_b32_e64 v5, -1, exec_hi
// GFX11: v_lshrrev_b32_e64 v5, -1, exec_hi       ; encoding: [0x05,0x00,0x19,0xd5,0xc1,0xfe,0x00,0x02]

v_lshrrev_b32_e64 v5, 0.5, m0
// GFX11: v_lshrrev_b32_e64 v5, 0.5, m0           ; encoding: [0x05,0x00,0x19,0xd5,0xf0,0xfa,0x00,0x02]

v_lshrrev_b32_e64 v5, src_scc, vcc_lo
// GFX11: v_lshrrev_b32_e64 v5, src_scc, vcc_lo   ; encoding: [0x05,0x00,0x19,0xd5,0xfd,0xd4,0x00,0x02]

v_lshrrev_b32_e64 v255, 0xaf123456, vcc_hi
// GFX11: v_lshrrev_b32_e64 v255, 0xaf123456, vcc_hi ; encoding: [0xff,0x00,0x19,0xd5,0xff,0xd6,0x00,0x02,0x56,0x34,0x12,0xaf]

v_max_f16_e64 v5.l, v1.l, v2.l
// GFX11: v_max_f16_e64 v5.l, v1.l, v2.l          ; encoding: [0x05,0x00,0x39,0xd5,0x01,0x05,0x02,0x02]

v_max_f16_e64 v5.l, v255.l, v255.l
// GFX11: v_max_f16_e64 v5.l, v255.l, v255.l      ; encoding: [0x05,0x00,0x39,0xd5,0xff,0xff,0x03,0x02]

v_max_f16_e64 v5.l, s1, s2
// GFX11: v_max_f16_e64 v5.l, s1, s2              ; encoding: [0x05,0x00,0x39,0xd5,0x01,0x04,0x00,0x02]

v_max_f16_e64 v5.l, s105, s105
// GFX11: v_max_f16_e64 v5.l, s105, s105          ; encoding: [0x05,0x00,0x39,0xd5,0x69,0xd2,0x00,0x02]

v_max_f16_e64 v5.l, vcc_lo, ttmp15
// GFX11: v_max_f16_e64 v5.l, vcc_lo, ttmp15      ; encoding: [0x05,0x00,0x39,0xd5,0x6a,0xf6,0x00,0x02]

v_max_f16_e64 v5.l, vcc_hi, 0xfe0b
// GFX11: v_max_f16_e64 v5.l, vcc_hi, 0xfe0b      ; encoding: [0x05,0x00,0x39,0xd5,0x6b,0xfe,0x01,0x02,0x0b,0xfe,0x00,0x00]

v_max_f16_e64 v5.l, ttmp15, src_scc
// GFX11: v_max_f16_e64 v5.l, ttmp15, src_scc     ; encoding: [0x05,0x00,0x39,0xd5,0x7b,0xfa,0x01,0x02]

v_max_f16_e64 v5.l, m0, 0.5
// GFX11: v_max_f16_e64 v5.l, m0, 0.5             ; encoding: [0x05,0x00,0x39,0xd5,0x7d,0xe0,0x01,0x02]

v_max_f16_e64 v5.l, exec_lo, -1
// GFX11: v_max_f16_e64 v5.l, exec_lo, -1         ; encoding: [0x05,0x00,0x39,0xd5,0x7e,0x82,0x01,0x02]

v_max_f16_e64 v5.l, |exec_hi|, null
// GFX11: v_max_f16_e64 v5.l, |exec_hi|, null     ; encoding: [0x05,0x01,0x39,0xd5,0x7f,0xf8,0x00,0x02]

v_max_f16_e64 v5.l, null, exec_lo
// GFX11: v_max_f16_e64 v5.l, null, exec_lo       ; encoding: [0x05,0x00,0x39,0xd5,0x7c,0xfc,0x00,0x02]

v_max_f16_e64 v5.l, -1, exec_hi
// GFX11: v_max_f16_e64 v5.l, -1, exec_hi         ; encoding: [0x05,0x00,0x39,0xd5,0xc1,0xfe,0x00,0x02]

v_max_f16_e64 v5.l, 0.5, -m0 mul:2
// GFX11: v_max_f16_e64 v5.l, 0.5, -m0 mul:2      ; encoding: [0x05,0x00,0x39,0xd5,0xf0,0xfa,0x00,0x4a]

v_max_f16_e64 v5.l, -src_scc, |vcc_lo| mul:4
// GFX11: v_max_f16_e64 v5.l, -src_scc, |vcc_lo| mul:4 ; encoding: [0x05,0x02,0x39,0xd5,0xfd,0xd4,0x00,0x32]

v_max_f16_e64 v255.l, -|0xfe0b|, -|vcc_hi| clamp div:2
// GFX11: v_max_f16_e64 v255.l, -|0xfe0b|, -|vcc_hi| clamp div:2 ; encoding: [0xff,0x83,0x39,0xd5,0xff,0xd6,0x00,0x7a,0x0b,0xfe,0x00,0x00]

v_max_f16_e64 v5.l, v1.h, v2.l
// GFX11: v_max_f16_e64 v5.l, v1.h, v2.l op_sel:[1,0,0] ; encoding: [0x05,0x08,0x39,0xd5,0x01,0x05,0x02,0x02]

v_max_f16_e64 v5.l, v255.l, v255.h
// GFX11: v_max_f16_e64 v5.l, v255.l, v255.h op_sel:[0,1,0] ; encoding: [0x05,0x10,0x39,0xd5,0xff,0xff,0x03,0x02]

v_max_f16_e64 v255.h, -|0xfe0b|, -|vcc_hi| clamp div:2
// GFX11: v_max_f16_e64 v255.h, -|0xfe0b|, -|vcc_hi| op_sel:[0,0,1] clamp div:2 ; encoding: [0xff,0xc3,0x39,0xd5,0xff,0xd6,0x00,0x7a,0x0b,0xfe,0x00,0x00]

v_max_f32_e64 v5, v1, v2
// GFX11: v_max_f32_e64 v5, v1, v2                ; encoding: [0x05,0x00,0x10,0xd5,0x01,0x05,0x02,0x02]

v_max_f32_e64 v5, v255, v255
// GFX11: v_max_f32_e64 v5, v255, v255            ; encoding: [0x05,0x00,0x10,0xd5,0xff,0xff,0x03,0x02]

v_max_f32_e64 v5, s1, s2
// GFX11: v_max_f32_e64 v5, s1, s2                ; encoding: [0x05,0x00,0x10,0xd5,0x01,0x04,0x00,0x02]

v_max_f32_e64 v5, s105, s105
// GFX11: v_max_f32_e64 v5, s105, s105            ; encoding: [0x05,0x00,0x10,0xd5,0x69,0xd2,0x00,0x02]

v_max_f32_e64 v5, vcc_lo, ttmp15
// GFX11: v_max_f32_e64 v5, vcc_lo, ttmp15        ; encoding: [0x05,0x00,0x10,0xd5,0x6a,0xf6,0x00,0x02]

v_max_f32_e64 v5, vcc_hi, 0xaf123456
// GFX11: v_max_f32_e64 v5, vcc_hi, 0xaf123456    ; encoding: [0x05,0x00,0x10,0xd5,0x6b,0xfe,0x01,0x02,0x56,0x34,0x12,0xaf]

v_max_f32_e64 v5, ttmp15, src_scc
// GFX11: v_max_f32_e64 v5, ttmp15, src_scc       ; encoding: [0x05,0x00,0x10,0xd5,0x7b,0xfa,0x01,0x02]

v_max_f32_e64 v5, m0, 0.5
// GFX11: v_max_f32_e64 v5, m0, 0.5               ; encoding: [0x05,0x00,0x10,0xd5,0x7d,0xe0,0x01,0x02]

v_max_f32_e64 v5, exec_lo, -1
// GFX11: v_max_f32_e64 v5, exec_lo, -1           ; encoding: [0x05,0x00,0x10,0xd5,0x7e,0x82,0x01,0x02]

v_max_f32_e64 v5, |exec_hi|, null
// GFX11: v_max_f32_e64 v5, |exec_hi|, null       ; encoding: [0x05,0x01,0x10,0xd5,0x7f,0xf8,0x00,0x02]

v_max_f32_e64 v5, null, exec_lo
// GFX11: v_max_f32_e64 v5, null, exec_lo         ; encoding: [0x05,0x00,0x10,0xd5,0x7c,0xfc,0x00,0x02]

v_max_f32_e64 v5, -1, exec_hi
// GFX11: v_max_f32_e64 v5, -1, exec_hi           ; encoding: [0x05,0x00,0x10,0xd5,0xc1,0xfe,0x00,0x02]

v_max_f32_e64 v5, 0.5, -m0 mul:2
// GFX11: v_max_f32_e64 v5, 0.5, -m0 mul:2        ; encoding: [0x05,0x00,0x10,0xd5,0xf0,0xfa,0x00,0x4a]

v_max_f32_e64 v5, -src_scc, |vcc_lo| mul:4
// GFX11: v_max_f32_e64 v5, -src_scc, |vcc_lo| mul:4 ; encoding: [0x05,0x02,0x10,0xd5,0xfd,0xd4,0x00,0x32]

v_max_f32_e64 v255, -|0xaf123456|, -|vcc_hi| clamp div:2
// GFX11: v_max_f32_e64 v255, -|0xaf123456|, -|vcc_hi| clamp div:2 ; encoding: [0xff,0x83,0x10,0xd5,0xff,0xd6,0x00,0x7a,0x56,0x34,0x12,0xaf]

v_max_i32_e64 v5, v1, v2
// GFX11: v_max_i32_e64 v5, v1, v2                ; encoding: [0x05,0x00,0x12,0xd5,0x01,0x05,0x02,0x02]

v_max_i32_e64 v5, v255, v255
// GFX11: v_max_i32_e64 v5, v255, v255            ; encoding: [0x05,0x00,0x12,0xd5,0xff,0xff,0x03,0x02]

v_max_i32_e64 v5, s1, s2
// GFX11: v_max_i32_e64 v5, s1, s2                ; encoding: [0x05,0x00,0x12,0xd5,0x01,0x04,0x00,0x02]

v_max_i32_e64 v5, s105, s105
// GFX11: v_max_i32_e64 v5, s105, s105            ; encoding: [0x05,0x00,0x12,0xd5,0x69,0xd2,0x00,0x02]

v_max_i32_e64 v5, vcc_lo, ttmp15
// GFX11: v_max_i32_e64 v5, vcc_lo, ttmp15        ; encoding: [0x05,0x00,0x12,0xd5,0x6a,0xf6,0x00,0x02]

v_max_i32_e64 v5, vcc_hi, 0xaf123456
// GFX11: v_max_i32_e64 v5, vcc_hi, 0xaf123456    ; encoding: [0x05,0x00,0x12,0xd5,0x6b,0xfe,0x01,0x02,0x56,0x34,0x12,0xaf]

v_max_i32_e64 v5, ttmp15, src_scc
// GFX11: v_max_i32_e64 v5, ttmp15, src_scc       ; encoding: [0x05,0x00,0x12,0xd5,0x7b,0xfa,0x01,0x02]

v_max_i32_e64 v5, m0, 0.5
// GFX11: v_max_i32_e64 v5, m0, 0.5               ; encoding: [0x05,0x00,0x12,0xd5,0x7d,0xe0,0x01,0x02]

v_max_i32_e64 v5, exec_lo, -1
// GFX11: v_max_i32_e64 v5, exec_lo, -1           ; encoding: [0x05,0x00,0x12,0xd5,0x7e,0x82,0x01,0x02]

v_max_i32_e64 v5, exec_hi, null
// GFX11: v_max_i32_e64 v5, exec_hi, null         ; encoding: [0x05,0x00,0x12,0xd5,0x7f,0xf8,0x00,0x02]

v_max_i32_e64 v5, null, exec_lo
// GFX11: v_max_i32_e64 v5, null, exec_lo         ; encoding: [0x05,0x00,0x12,0xd5,0x7c,0xfc,0x00,0x02]

v_max_i32_e64 v5, -1, exec_hi
// GFX11: v_max_i32_e64 v5, -1, exec_hi           ; encoding: [0x05,0x00,0x12,0xd5,0xc1,0xfe,0x00,0x02]

v_max_i32_e64 v5, 0.5, m0
// GFX11: v_max_i32_e64 v5, 0.5, m0               ; encoding: [0x05,0x00,0x12,0xd5,0xf0,0xfa,0x00,0x02]

v_max_i32_e64 v5, src_scc, vcc_lo
// GFX11: v_max_i32_e64 v5, src_scc, vcc_lo       ; encoding: [0x05,0x00,0x12,0xd5,0xfd,0xd4,0x00,0x02]

v_max_i32_e64 v255, 0xaf123456, vcc_hi
// GFX11: v_max_i32_e64 v255, 0xaf123456, vcc_hi  ; encoding: [0xff,0x00,0x12,0xd5,0xff,0xd6,0x00,0x02,0x56,0x34,0x12,0xaf]

v_max_u32_e64 v5, v1, v2
// GFX11: v_max_u32_e64 v5, v1, v2                ; encoding: [0x05,0x00,0x14,0xd5,0x01,0x05,0x02,0x02]

v_max_u32_e64 v5, v255, v255
// GFX11: v_max_u32_e64 v5, v255, v255            ; encoding: [0x05,0x00,0x14,0xd5,0xff,0xff,0x03,0x02]

v_max_u32_e64 v5, s1, s2
// GFX11: v_max_u32_e64 v5, s1, s2                ; encoding: [0x05,0x00,0x14,0xd5,0x01,0x04,0x00,0x02]

v_max_u32_e64 v5, s105, s105
// GFX11: v_max_u32_e64 v5, s105, s105            ; encoding: [0x05,0x00,0x14,0xd5,0x69,0xd2,0x00,0x02]

v_max_u32_e64 v5, vcc_lo, ttmp15
// GFX11: v_max_u32_e64 v5, vcc_lo, ttmp15        ; encoding: [0x05,0x00,0x14,0xd5,0x6a,0xf6,0x00,0x02]

v_max_u32_e64 v5, vcc_hi, 0xaf123456
// GFX11: v_max_u32_e64 v5, vcc_hi, 0xaf123456    ; encoding: [0x05,0x00,0x14,0xd5,0x6b,0xfe,0x01,0x02,0x56,0x34,0x12,0xaf]

v_max_u32_e64 v5, ttmp15, src_scc
// GFX11: v_max_u32_e64 v5, ttmp15, src_scc       ; encoding: [0x05,0x00,0x14,0xd5,0x7b,0xfa,0x01,0x02]

v_max_u32_e64 v5, m0, 0.5
// GFX11: v_max_u32_e64 v5, m0, 0.5               ; encoding: [0x05,0x00,0x14,0xd5,0x7d,0xe0,0x01,0x02]

v_max_u32_e64 v5, exec_lo, -1
// GFX11: v_max_u32_e64 v5, exec_lo, -1           ; encoding: [0x05,0x00,0x14,0xd5,0x7e,0x82,0x01,0x02]

v_max_u32_e64 v5, exec_hi, null
// GFX11: v_max_u32_e64 v5, exec_hi, null         ; encoding: [0x05,0x00,0x14,0xd5,0x7f,0xf8,0x00,0x02]

v_max_u32_e64 v5, null, exec_lo
// GFX11: v_max_u32_e64 v5, null, exec_lo         ; encoding: [0x05,0x00,0x14,0xd5,0x7c,0xfc,0x00,0x02]

v_max_u32_e64 v5, -1, exec_hi
// GFX11: v_max_u32_e64 v5, -1, exec_hi           ; encoding: [0x05,0x00,0x14,0xd5,0xc1,0xfe,0x00,0x02]

v_max_u32_e64 v5, 0.5, m0
// GFX11: v_max_u32_e64 v5, 0.5, m0               ; encoding: [0x05,0x00,0x14,0xd5,0xf0,0xfa,0x00,0x02]

v_max_u32_e64 v5, src_scc, vcc_lo
// GFX11: v_max_u32_e64 v5, src_scc, vcc_lo       ; encoding: [0x05,0x00,0x14,0xd5,0xfd,0xd4,0x00,0x02]

v_max_u32_e64 v255, 0xaf123456, vcc_hi
// GFX11: v_max_u32_e64 v255, 0xaf123456, vcc_hi  ; encoding: [0xff,0x00,0x14,0xd5,0xff,0xd6,0x00,0x02,0x56,0x34,0x12,0xaf]

v_min_f16_e64 v5.l, v1.l, v2.l
// GFX11: v_min_f16_e64 v5.l, v1.l, v2.l          ; encoding: [0x05,0x00,0x3a,0xd5,0x01,0x05,0x02,0x02]

v_min_f16_e64 v5.l, v255.l, v255.l
// GFX11: v_min_f16_e64 v5.l, v255.l, v255.l      ; encoding: [0x05,0x00,0x3a,0xd5,0xff,0xff,0x03,0x02]

v_min_f16_e64 v5.l, s1, s2
// GFX11: v_min_f16_e64 v5.l, s1, s2              ; encoding: [0x05,0x00,0x3a,0xd5,0x01,0x04,0x00,0x02]

v_min_f16_e64 v5.l, s105, s105
// GFX11: v_min_f16_e64 v5.l, s105, s105          ; encoding: [0x05,0x00,0x3a,0xd5,0x69,0xd2,0x00,0x02]

v_min_f16_e64 v5.l, vcc_lo, ttmp15
// GFX11: v_min_f16_e64 v5.l, vcc_lo, ttmp15      ; encoding: [0x05,0x00,0x3a,0xd5,0x6a,0xf6,0x00,0x02]

v_min_f16_e64 v5.l, vcc_hi, 0xfe0b
// GFX11: v_min_f16_e64 v5.l, vcc_hi, 0xfe0b      ; encoding: [0x05,0x00,0x3a,0xd5,0x6b,0xfe,0x01,0x02,0x0b,0xfe,0x00,0x00]

v_min_f16_e64 v5.l, ttmp15, src_scc
// GFX11: v_min_f16_e64 v5.l, ttmp15, src_scc     ; encoding: [0x05,0x00,0x3a,0xd5,0x7b,0xfa,0x01,0x02]

v_min_f16_e64 v5.l, m0, 0.5
// GFX11: v_min_f16_e64 v5.l, m0, 0.5             ; encoding: [0x05,0x00,0x3a,0xd5,0x7d,0xe0,0x01,0x02]

v_min_f16_e64 v5.l, exec_lo, -1
// GFX11: v_min_f16_e64 v5.l, exec_lo, -1         ; encoding: [0x05,0x00,0x3a,0xd5,0x7e,0x82,0x01,0x02]

v_min_f16_e64 v5.l, |exec_hi|, null
// GFX11: v_min_f16_e64 v5.l, |exec_hi|, null     ; encoding: [0x05,0x01,0x3a,0xd5,0x7f,0xf8,0x00,0x02]

v_min_f16_e64 v5.l, null, exec_lo
// GFX11: v_min_f16_e64 v5.l, null, exec_lo       ; encoding: [0x05,0x00,0x3a,0xd5,0x7c,0xfc,0x00,0x02]

v_min_f16_e64 v5.l, -1, exec_hi
// GFX11: v_min_f16_e64 v5.l, -1, exec_hi         ; encoding: [0x05,0x00,0x3a,0xd5,0xc1,0xfe,0x00,0x02]

v_min_f16_e64 v5.l, 0.5, -m0 mul:2
// GFX11: v_min_f16_e64 v5.l, 0.5, -m0 mul:2      ; encoding: [0x05,0x00,0x3a,0xd5,0xf0,0xfa,0x00,0x4a]

v_min_f16_e64 v5.l, -src_scc, |vcc_lo| mul:4
// GFX11: v_min_f16_e64 v5.l, -src_scc, |vcc_lo| mul:4 ; encoding: [0x05,0x02,0x3a,0xd5,0xfd,0xd4,0x00,0x32]

v_min_f16_e64 v255.l, -|0xfe0b|, -|vcc_hi| clamp div:2
// GFX11: v_min_f16_e64 v255.l, -|0xfe0b|, -|vcc_hi| clamp div:2 ; encoding: [0xff,0x83,0x3a,0xd5,0xff,0xd6,0x00,0x7a,0x0b,0xfe,0x00,0x00]

v_min_f16_e64 v5.l, v1.h, v2.l
// GFX11: v_min_f16_e64 v5.l, v1.h, v2.l op_sel:[1,0,0] ; encoding: [0x05,0x08,0x3a,0xd5,0x01,0x05,0x02,0x02]

v_min_f16_e64 v5.l, v255.l, v255.h
// GFX11: v_min_f16_e64 v5.l, v255.l, v255.h op_sel:[0,1,0] ; encoding: [0x05,0x10,0x3a,0xd5,0xff,0xff,0x03,0x02]

v_min_f16_e64 v255.h, -|0xfe0b|, -|vcc_hi| clamp div:2
// GFX11: v_min_f16_e64 v255.h, -|0xfe0b|, -|vcc_hi| op_sel:[0,0,1] clamp div:2 ; encoding: [0xff,0xc3,0x3a,0xd5,0xff,0xd6,0x00,0x7a,0x0b,0xfe,0x00,0x00]

v_min_f32_e64 v5, v1, v2
// GFX11: v_min_f32_e64 v5, v1, v2                ; encoding: [0x05,0x00,0x0f,0xd5,0x01,0x05,0x02,0x02]

v_min_f32_e64 v5, v255, v255
// GFX11: v_min_f32_e64 v5, v255, v255            ; encoding: [0x05,0x00,0x0f,0xd5,0xff,0xff,0x03,0x02]

v_min_f32_e64 v5, s1, s2
// GFX11: v_min_f32_e64 v5, s1, s2                ; encoding: [0x05,0x00,0x0f,0xd5,0x01,0x04,0x00,0x02]

v_min_f32_e64 v5, s105, s105
// GFX11: v_min_f32_e64 v5, s105, s105            ; encoding: [0x05,0x00,0x0f,0xd5,0x69,0xd2,0x00,0x02]

v_min_f32_e64 v5, vcc_lo, ttmp15
// GFX11: v_min_f32_e64 v5, vcc_lo, ttmp15        ; encoding: [0x05,0x00,0x0f,0xd5,0x6a,0xf6,0x00,0x02]

v_min_f32_e64 v5, vcc_hi, 0xaf123456
// GFX11: v_min_f32_e64 v5, vcc_hi, 0xaf123456    ; encoding: [0x05,0x00,0x0f,0xd5,0x6b,0xfe,0x01,0x02,0x56,0x34,0x12,0xaf]

v_min_f32_e64 v5, ttmp15, src_scc
// GFX11: v_min_f32_e64 v5, ttmp15, src_scc       ; encoding: [0x05,0x00,0x0f,0xd5,0x7b,0xfa,0x01,0x02]

v_min_f32_e64 v5, m0, 0.5
// GFX11: v_min_f32_e64 v5, m0, 0.5               ; encoding: [0x05,0x00,0x0f,0xd5,0x7d,0xe0,0x01,0x02]

v_min_f32_e64 v5, exec_lo, -1
// GFX11: v_min_f32_e64 v5, exec_lo, -1           ; encoding: [0x05,0x00,0x0f,0xd5,0x7e,0x82,0x01,0x02]

v_min_f32_e64 v5, |exec_hi|, null
// GFX11: v_min_f32_e64 v5, |exec_hi|, null       ; encoding: [0x05,0x01,0x0f,0xd5,0x7f,0xf8,0x00,0x02]

v_min_f32_e64 v5, null, exec_lo
// GFX11: v_min_f32_e64 v5, null, exec_lo         ; encoding: [0x05,0x00,0x0f,0xd5,0x7c,0xfc,0x00,0x02]

v_min_f32_e64 v5, -1, exec_hi
// GFX11: v_min_f32_e64 v5, -1, exec_hi           ; encoding: [0x05,0x00,0x0f,0xd5,0xc1,0xfe,0x00,0x02]

v_min_f32_e64 v5, 0.5, -m0 mul:2
// GFX11: v_min_f32_e64 v5, 0.5, -m0 mul:2        ; encoding: [0x05,0x00,0x0f,0xd5,0xf0,0xfa,0x00,0x4a]

v_min_f32_e64 v5, -src_scc, |vcc_lo| mul:4
// GFX11: v_min_f32_e64 v5, -src_scc, |vcc_lo| mul:4 ; encoding: [0x05,0x02,0x0f,0xd5,0xfd,0xd4,0x00,0x32]

v_min_f32_e64 v255, -|0xaf123456|, -|vcc_hi| clamp div:2
// GFX11: v_min_f32_e64 v255, -|0xaf123456|, -|vcc_hi| clamp div:2 ; encoding: [0xff,0x83,0x0f,0xd5,0xff,0xd6,0x00,0x7a,0x56,0x34,0x12,0xaf]

v_min_i32_e64 v5, v1, v2
// GFX11: v_min_i32_e64 v5, v1, v2                ; encoding: [0x05,0x00,0x11,0xd5,0x01,0x05,0x02,0x02]

v_min_i32_e64 v5, v255, v255
// GFX11: v_min_i32_e64 v5, v255, v255            ; encoding: [0x05,0x00,0x11,0xd5,0xff,0xff,0x03,0x02]

v_min_i32_e64 v5, s1, s2
// GFX11: v_min_i32_e64 v5, s1, s2                ; encoding: [0x05,0x00,0x11,0xd5,0x01,0x04,0x00,0x02]

v_min_i32_e64 v5, s105, s105
// GFX11: v_min_i32_e64 v5, s105, s105            ; encoding: [0x05,0x00,0x11,0xd5,0x69,0xd2,0x00,0x02]

v_min_i32_e64 v5, vcc_lo, ttmp15
// GFX11: v_min_i32_e64 v5, vcc_lo, ttmp15        ; encoding: [0x05,0x00,0x11,0xd5,0x6a,0xf6,0x00,0x02]

v_min_i32_e64 v5, vcc_hi, 0xaf123456
// GFX11: v_min_i32_e64 v5, vcc_hi, 0xaf123456    ; encoding: [0x05,0x00,0x11,0xd5,0x6b,0xfe,0x01,0x02,0x56,0x34,0x12,0xaf]

v_min_i32_e64 v5, ttmp15, src_scc
// GFX11: v_min_i32_e64 v5, ttmp15, src_scc       ; encoding: [0x05,0x00,0x11,0xd5,0x7b,0xfa,0x01,0x02]

v_min_i32_e64 v5, m0, 0.5
// GFX11: v_min_i32_e64 v5, m0, 0.5               ; encoding: [0x05,0x00,0x11,0xd5,0x7d,0xe0,0x01,0x02]

v_min_i32_e64 v5, exec_lo, -1
// GFX11: v_min_i32_e64 v5, exec_lo, -1           ; encoding: [0x05,0x00,0x11,0xd5,0x7e,0x82,0x01,0x02]

v_min_i32_e64 v5, exec_hi, null
// GFX11: v_min_i32_e64 v5, exec_hi, null         ; encoding: [0x05,0x00,0x11,0xd5,0x7f,0xf8,0x00,0x02]

v_min_i32_e64 v5, null, exec_lo
// GFX11: v_min_i32_e64 v5, null, exec_lo         ; encoding: [0x05,0x00,0x11,0xd5,0x7c,0xfc,0x00,0x02]

v_min_i32_e64 v5, -1, exec_hi
// GFX11: v_min_i32_e64 v5, -1, exec_hi           ; encoding: [0x05,0x00,0x11,0xd5,0xc1,0xfe,0x00,0x02]

v_min_i32_e64 v5, 0.5, m0
// GFX11: v_min_i32_e64 v5, 0.5, m0               ; encoding: [0x05,0x00,0x11,0xd5,0xf0,0xfa,0x00,0x02]

v_min_i32_e64 v5, src_scc, vcc_lo
// GFX11: v_min_i32_e64 v5, src_scc, vcc_lo       ; encoding: [0x05,0x00,0x11,0xd5,0xfd,0xd4,0x00,0x02]

v_min_i32_e64 v255, 0xaf123456, vcc_hi
// GFX11: v_min_i32_e64 v255, 0xaf123456, vcc_hi  ; encoding: [0xff,0x00,0x11,0xd5,0xff,0xd6,0x00,0x02,0x56,0x34,0x12,0xaf]

v_min_u32_e64 v5, v1, v2
// GFX11: v_min_u32_e64 v5, v1, v2                ; encoding: [0x05,0x00,0x13,0xd5,0x01,0x05,0x02,0x02]

v_min_u32_e64 v5, v255, v255
// GFX11: v_min_u32_e64 v5, v255, v255            ; encoding: [0x05,0x00,0x13,0xd5,0xff,0xff,0x03,0x02]

v_min_u32_e64 v5, s1, s2
// GFX11: v_min_u32_e64 v5, s1, s2                ; encoding: [0x05,0x00,0x13,0xd5,0x01,0x04,0x00,0x02]

v_min_u32_e64 v5, s105, s105
// GFX11: v_min_u32_e64 v5, s105, s105            ; encoding: [0x05,0x00,0x13,0xd5,0x69,0xd2,0x00,0x02]

v_min_u32_e64 v5, vcc_lo, ttmp15
// GFX11: v_min_u32_e64 v5, vcc_lo, ttmp15        ; encoding: [0x05,0x00,0x13,0xd5,0x6a,0xf6,0x00,0x02]

v_min_u32_e64 v5, vcc_hi, 0xaf123456
// GFX11: v_min_u32_e64 v5, vcc_hi, 0xaf123456    ; encoding: [0x05,0x00,0x13,0xd5,0x6b,0xfe,0x01,0x02,0x56,0x34,0x12,0xaf]

v_min_u32_e64 v5, ttmp15, src_scc
// GFX11: v_min_u32_e64 v5, ttmp15, src_scc       ; encoding: [0x05,0x00,0x13,0xd5,0x7b,0xfa,0x01,0x02]

v_min_u32_e64 v5, m0, 0.5
// GFX11: v_min_u32_e64 v5, m0, 0.5               ; encoding: [0x05,0x00,0x13,0xd5,0x7d,0xe0,0x01,0x02]

v_min_u32_e64 v5, exec_lo, -1
// GFX11: v_min_u32_e64 v5, exec_lo, -1           ; encoding: [0x05,0x00,0x13,0xd5,0x7e,0x82,0x01,0x02]

v_min_u32_e64 v5, exec_hi, null
// GFX11: v_min_u32_e64 v5, exec_hi, null         ; encoding: [0x05,0x00,0x13,0xd5,0x7f,0xf8,0x00,0x02]

v_min_u32_e64 v5, null, exec_lo
// GFX11: v_min_u32_e64 v5, null, exec_lo         ; encoding: [0x05,0x00,0x13,0xd5,0x7c,0xfc,0x00,0x02]

v_min_u32_e64 v5, -1, exec_hi
// GFX11: v_min_u32_e64 v5, -1, exec_hi           ; encoding: [0x05,0x00,0x13,0xd5,0xc1,0xfe,0x00,0x02]

v_min_u32_e64 v5, 0.5, m0
// GFX11: v_min_u32_e64 v5, 0.5, m0               ; encoding: [0x05,0x00,0x13,0xd5,0xf0,0xfa,0x00,0x02]

v_min_u32_e64 v5, src_scc, vcc_lo
// GFX11: v_min_u32_e64 v5, src_scc, vcc_lo       ; encoding: [0x05,0x00,0x13,0xd5,0xfd,0xd4,0x00,0x02]

v_min_u32_e64 v255, 0xaf123456, vcc_hi
// GFX11: v_min_u32_e64 v255, 0xaf123456, vcc_hi  ; encoding: [0xff,0x00,0x13,0xd5,0xff,0xd6,0x00,0x02,0x56,0x34,0x12,0xaf]

v_mul_dx9_zero_f32_e64 v5, v1, v2
// GFX11: v_mul_dx9_zero_f32_e64 v5, v1, v2       ; encoding: [0x05,0x00,0x07,0xd5,0x01,0x05,0x02,0x02]

v_mul_dx9_zero_f32_e64 v5, v255, v255
// GFX11: v_mul_dx9_zero_f32_e64 v5, v255, v255   ; encoding: [0x05,0x00,0x07,0xd5,0xff,0xff,0x03,0x02]

v_mul_dx9_zero_f32_e64 v5, s1, s2
// GFX11: v_mul_dx9_zero_f32_e64 v5, s1, s2       ; encoding: [0x05,0x00,0x07,0xd5,0x01,0x04,0x00,0x02]

v_mul_dx9_zero_f32_e64 v5, s105, s105
// GFX11: v_mul_dx9_zero_f32_e64 v5, s105, s105   ; encoding: [0x05,0x00,0x07,0xd5,0x69,0xd2,0x00,0x02]

v_mul_dx9_zero_f32_e64 v5, vcc_lo, ttmp15
// GFX11: v_mul_dx9_zero_f32_e64 v5, vcc_lo, ttmp15 ; encoding: [0x05,0x00,0x07,0xd5,0x6a,0xf6,0x00,0x02]

v_mul_dx9_zero_f32_e64 v5, vcc_hi, 0xaf123456
// GFX11: v_mul_dx9_zero_f32_e64 v5, vcc_hi, 0xaf123456 ; encoding: [0x05,0x00,0x07,0xd5,0x6b,0xfe,0x01,0x02,0x56,0x34,0x12,0xaf]

v_mul_dx9_zero_f32_e64 v5, ttmp15, src_scc
// GFX11: v_mul_dx9_zero_f32_e64 v5, ttmp15, src_scc ; encoding: [0x05,0x00,0x07,0xd5,0x7b,0xfa,0x01,0x02]

v_mul_dx9_zero_f32_e64 v5, m0, 0.5
// GFX11: v_mul_dx9_zero_f32_e64 v5, m0, 0.5      ; encoding: [0x05,0x00,0x07,0xd5,0x7d,0xe0,0x01,0x02]

v_mul_dx9_zero_f32_e64 v5, exec_lo, -1
// GFX11: v_mul_dx9_zero_f32_e64 v5, exec_lo, -1  ; encoding: [0x05,0x00,0x07,0xd5,0x7e,0x82,0x01,0x02]

v_mul_dx9_zero_f32_e64 v5, |exec_hi|, null
// GFX11: v_mul_dx9_zero_f32_e64 v5, |exec_hi|, null ; encoding: [0x05,0x01,0x07,0xd5,0x7f,0xf8,0x00,0x02]

v_mul_dx9_zero_f32_e64 v5, null, exec_lo
// GFX11: v_mul_dx9_zero_f32_e64 v5, null, exec_lo ; encoding: [0x05,0x00,0x07,0xd5,0x7c,0xfc,0x00,0x02]

v_mul_dx9_zero_f32_e64 v5, -1, exec_hi
// GFX11: v_mul_dx9_zero_f32_e64 v5, -1, exec_hi  ; encoding: [0x05,0x00,0x07,0xd5,0xc1,0xfe,0x00,0x02]

v_mul_dx9_zero_f32_e64 v5, 0.5, -m0 mul:2
// GFX11: v_mul_dx9_zero_f32_e64 v5, 0.5, -m0 mul:2 ; encoding: [0x05,0x00,0x07,0xd5,0xf0,0xfa,0x00,0x4a]

v_mul_dx9_zero_f32_e64 v5, -src_scc, |vcc_lo| mul:4
// GFX11: v_mul_dx9_zero_f32_e64 v5, -src_scc, |vcc_lo| mul:4 ; encoding: [0x05,0x02,0x07,0xd5,0xfd,0xd4,0x00,0x32]

v_mul_dx9_zero_f32_e64 v255, -|0xaf123456|, -|vcc_hi| clamp div:2
// GFX11: v_mul_dx9_zero_f32_e64 v255, -|0xaf123456|, -|vcc_hi| clamp div:2 ; encoding: [0xff,0x83,0x07,0xd5,0xff,0xd6,0x00,0x7a,0x56,0x34,0x12,0xaf]

v_mul_f16_e64 v5.l, v1.l, v2.l
// GFX11: v_mul_f16_e64 v5.l, v1.l, v2.l          ; encoding: [0x05,0x00,0x35,0xd5,0x01,0x05,0x02,0x02]

v_mul_f16_e64 v5.l, v255.l, v255.l
// GFX11: v_mul_f16_e64 v5.l, v255.l, v255.l      ; encoding: [0x05,0x00,0x35,0xd5,0xff,0xff,0x03,0x02]

v_mul_f16_e64 v5.l, s1, s2
// GFX11: v_mul_f16_e64 v5.l, s1, s2              ; encoding: [0x05,0x00,0x35,0xd5,0x01,0x04,0x00,0x02]

v_mul_f16_e64 v5.l, s105, s105
// GFX11: v_mul_f16_e64 v5.l, s105, s105          ; encoding: [0x05,0x00,0x35,0xd5,0x69,0xd2,0x00,0x02]

v_mul_f16_e64 v5.l, vcc_lo, ttmp15
// GFX11: v_mul_f16_e64 v5.l, vcc_lo, ttmp15      ; encoding: [0x05,0x00,0x35,0xd5,0x6a,0xf6,0x00,0x02]

v_mul_f16_e64 v5.l, vcc_hi, 0xfe0b
// GFX11: v_mul_f16_e64 v5.l, vcc_hi, 0xfe0b      ; encoding: [0x05,0x00,0x35,0xd5,0x6b,0xfe,0x01,0x02,0x0b,0xfe,0x00,0x00]

v_mul_f16_e64 v5.l, ttmp15, src_scc
// GFX11: v_mul_f16_e64 v5.l, ttmp15, src_scc     ; encoding: [0x05,0x00,0x35,0xd5,0x7b,0xfa,0x01,0x02]

v_mul_f16_e64 v5.l, m0, 0.5
// GFX11: v_mul_f16_e64 v5.l, m0, 0.5             ; encoding: [0x05,0x00,0x35,0xd5,0x7d,0xe0,0x01,0x02]

v_mul_f16_e64 v5.l, exec_lo, -1
// GFX11: v_mul_f16_e64 v5.l, exec_lo, -1         ; encoding: [0x05,0x00,0x35,0xd5,0x7e,0x82,0x01,0x02]

v_mul_f16_e64 v5.l, |exec_hi|, null
// GFX11: v_mul_f16_e64 v5.l, |exec_hi|, null     ; encoding: [0x05,0x01,0x35,0xd5,0x7f,0xf8,0x00,0x02]

v_mul_f16_e64 v5.l, null, exec_lo
// GFX11: v_mul_f16_e64 v5.l, null, exec_lo       ; encoding: [0x05,0x00,0x35,0xd5,0x7c,0xfc,0x00,0x02]

v_mul_f16_e64 v5.l, -1, exec_hi
// GFX11: v_mul_f16_e64 v5.l, -1, exec_hi         ; encoding: [0x05,0x00,0x35,0xd5,0xc1,0xfe,0x00,0x02]

v_mul_f16_e64 v5.l, 0.5, -m0 mul:2
// GFX11: v_mul_f16_e64 v5.l, 0.5, -m0 mul:2      ; encoding: [0x05,0x00,0x35,0xd5,0xf0,0xfa,0x00,0x4a]

v_mul_f16_e64 v5.l, -src_scc, |vcc_lo| mul:4
// GFX11: v_mul_f16_e64 v5.l, -src_scc, |vcc_lo| mul:4 ; encoding: [0x05,0x02,0x35,0xd5,0xfd,0xd4,0x00,0x32]

v_mul_f16_e64 v255.l, -|0xfe0b|, -|vcc_hi| clamp div:2
// GFX11: v_mul_f16_e64 v255.l, -|0xfe0b|, -|vcc_hi| clamp div:2 ; encoding: [0xff,0x83,0x35,0xd5,0xff,0xd6,0x00,0x7a,0x0b,0xfe,0x00,0x00]

v_mul_f16_e64 v5.l, v1.h, v2.l
// GFX11: v_mul_f16_e64 v5.l, v1.h, v2.l op_sel:[1,0,0] ; encoding: [0x05,0x08,0x35,0xd5,0x01,0x05,0x02,0x02]

v_mul_f16_e64 v5.l, v255.l, v255.h
// GFX11: v_mul_f16_e64 v5.l, v255.l, v255.h op_sel:[0,1,0] ; encoding: [0x05,0x10,0x35,0xd5,0xff,0xff,0x03,0x02]

v_mul_f16_e64 v255.h, -|0xfe0b|, -|vcc_hi| clamp div:2
// GFX11: v_mul_f16_e64 v255.h, -|0xfe0b|, -|vcc_hi| op_sel:[0,0,1] clamp div:2 ; encoding: [0xff,0xc3,0x35,0xd5,0xff,0xd6,0x00,0x7a,0x0b,0xfe,0x00,0x00]

v_mul_f32_e64 v5, v1, v2
// GFX11: v_mul_f32_e64 v5, v1, v2                ; encoding: [0x05,0x00,0x08,0xd5,0x01,0x05,0x02,0x02]

v_mul_f32_e64 v5, v255, v255
// GFX11: v_mul_f32_e64 v5, v255, v255            ; encoding: [0x05,0x00,0x08,0xd5,0xff,0xff,0x03,0x02]

v_mul_f32_e64 v5, s1, s2
// GFX11: v_mul_f32_e64 v5, s1, s2                ; encoding: [0x05,0x00,0x08,0xd5,0x01,0x04,0x00,0x02]

v_mul_f32_e64 v5, s105, s105
// GFX11: v_mul_f32_e64 v5, s105, s105            ; encoding: [0x05,0x00,0x08,0xd5,0x69,0xd2,0x00,0x02]

v_mul_f32_e64 v5, vcc_lo, ttmp15
// GFX11: v_mul_f32_e64 v5, vcc_lo, ttmp15        ; encoding: [0x05,0x00,0x08,0xd5,0x6a,0xf6,0x00,0x02]

v_mul_f32_e64 v5, vcc_hi, 0xaf123456
// GFX11: v_mul_f32_e64 v5, vcc_hi, 0xaf123456    ; encoding: [0x05,0x00,0x08,0xd5,0x6b,0xfe,0x01,0x02,0x56,0x34,0x12,0xaf]

v_mul_f32_e64 v5, ttmp15, src_scc
// GFX11: v_mul_f32_e64 v5, ttmp15, src_scc       ; encoding: [0x05,0x00,0x08,0xd5,0x7b,0xfa,0x01,0x02]

v_mul_f32_e64 v5, m0, 0.5
// GFX11: v_mul_f32_e64 v5, m0, 0.5               ; encoding: [0x05,0x00,0x08,0xd5,0x7d,0xe0,0x01,0x02]

v_mul_f32_e64 v5, exec_lo, -1
// GFX11: v_mul_f32_e64 v5, exec_lo, -1           ; encoding: [0x05,0x00,0x08,0xd5,0x7e,0x82,0x01,0x02]

v_mul_f32_e64 v5, |exec_hi|, null
// GFX11: v_mul_f32_e64 v5, |exec_hi|, null       ; encoding: [0x05,0x01,0x08,0xd5,0x7f,0xf8,0x00,0x02]

v_mul_f32_e64 v5, null, exec_lo
// GFX11: v_mul_f32_e64 v5, null, exec_lo         ; encoding: [0x05,0x00,0x08,0xd5,0x7c,0xfc,0x00,0x02]

v_mul_f32_e64 v5, -1, exec_hi
// GFX11: v_mul_f32_e64 v5, -1, exec_hi           ; encoding: [0x05,0x00,0x08,0xd5,0xc1,0xfe,0x00,0x02]

v_mul_f32_e64 v5, 0.5, -m0 mul:2
// GFX11: v_mul_f32_e64 v5, 0.5, -m0 mul:2        ; encoding: [0x05,0x00,0x08,0xd5,0xf0,0xfa,0x00,0x4a]

v_mul_f32_e64 v5, -src_scc, |vcc_lo| mul:4
// GFX11: v_mul_f32_e64 v5, -src_scc, |vcc_lo| mul:4 ; encoding: [0x05,0x02,0x08,0xd5,0xfd,0xd4,0x00,0x32]

v_mul_f32_e64 v255, -|0xaf123456|, -|vcc_hi| clamp div:2
// GFX11: v_mul_f32_e64 v255, -|0xaf123456|, -|vcc_hi| clamp div:2 ; encoding: [0xff,0x83,0x08,0xd5,0xff,0xd6,0x00,0x7a,0x56,0x34,0x12,0xaf]

v_mul_hi_i32_i24_e64 v5, v1, v2
// GFX11: v_mul_hi_i32_i24_e64 v5, v1, v2         ; encoding: [0x05,0x00,0x0a,0xd5,0x01,0x05,0x02,0x02]

v_mul_hi_i32_i24_e64 v5, v255, v255
// GFX11: v_mul_hi_i32_i24_e64 v5, v255, v255     ; encoding: [0x05,0x00,0x0a,0xd5,0xff,0xff,0x03,0x02]

v_mul_hi_i32_i24_e64 v5, s1, s2
// GFX11: v_mul_hi_i32_i24_e64 v5, s1, s2         ; encoding: [0x05,0x00,0x0a,0xd5,0x01,0x04,0x00,0x02]

v_mul_hi_i32_i24_e64 v5, s105, s105
// GFX11: v_mul_hi_i32_i24_e64 v5, s105, s105     ; encoding: [0x05,0x00,0x0a,0xd5,0x69,0xd2,0x00,0x02]

v_mul_hi_i32_i24_e64 v5, vcc_lo, ttmp15
// GFX11: v_mul_hi_i32_i24_e64 v5, vcc_lo, ttmp15 ; encoding: [0x05,0x00,0x0a,0xd5,0x6a,0xf6,0x00,0x02]

v_mul_hi_i32_i24_e64 v5, vcc_hi, 0xaf123456
// GFX11: v_mul_hi_i32_i24_e64 v5, vcc_hi, 0xaf123456 ; encoding: [0x05,0x00,0x0a,0xd5,0x6b,0xfe,0x01,0x02,0x56,0x34,0x12,0xaf]

v_mul_hi_i32_i24_e64 v5, ttmp15, src_scc
// GFX11: v_mul_hi_i32_i24_e64 v5, ttmp15, src_scc ; encoding: [0x05,0x00,0x0a,0xd5,0x7b,0xfa,0x01,0x02]

v_mul_hi_i32_i24_e64 v5, m0, 0.5
// GFX11: v_mul_hi_i32_i24_e64 v5, m0, 0.5        ; encoding: [0x05,0x00,0x0a,0xd5,0x7d,0xe0,0x01,0x02]

v_mul_hi_i32_i24_e64 v5, exec_lo, -1
// GFX11: v_mul_hi_i32_i24_e64 v5, exec_lo, -1    ; encoding: [0x05,0x00,0x0a,0xd5,0x7e,0x82,0x01,0x02]

v_mul_hi_i32_i24_e64 v5, exec_hi, null
// GFX11: v_mul_hi_i32_i24_e64 v5, exec_hi, null  ; encoding: [0x05,0x00,0x0a,0xd5,0x7f,0xf8,0x00,0x02]

v_mul_hi_i32_i24_e64 v5, null, exec_lo
// GFX11: v_mul_hi_i32_i24_e64 v5, null, exec_lo  ; encoding: [0x05,0x00,0x0a,0xd5,0x7c,0xfc,0x00,0x02]

v_mul_hi_i32_i24_e64 v5, -1, exec_hi
// GFX11: v_mul_hi_i32_i24_e64 v5, -1, exec_hi    ; encoding: [0x05,0x00,0x0a,0xd5,0xc1,0xfe,0x00,0x02]

v_mul_hi_i32_i24_e64 v5, 0.5, m0
// GFX11: v_mul_hi_i32_i24_e64 v5, 0.5, m0        ; encoding: [0x05,0x00,0x0a,0xd5,0xf0,0xfa,0x00,0x02]

v_mul_hi_i32_i24_e64 v5, src_scc, vcc_lo
// GFX11: v_mul_hi_i32_i24_e64 v5, src_scc, vcc_lo ; encoding: [0x05,0x00,0x0a,0xd5,0xfd,0xd4,0x00,0x02]

v_mul_hi_i32_i24_e64 v255, 0xaf123456, vcc_hi
// GFX11: v_mul_hi_i32_i24_e64 v255, 0xaf123456, vcc_hi ; encoding: [0xff,0x00,0x0a,0xd5,0xff,0xd6,0x00,0x02,0x56,0x34,0x12,0xaf]

v_mul_hi_u32_u24_e64 v5, v1, v2
// GFX11: v_mul_hi_u32_u24_e64 v5, v1, v2         ; encoding: [0x05,0x00,0x0c,0xd5,0x01,0x05,0x02,0x02]

v_mul_hi_u32_u24_e64 v5, v255, v255
// GFX11: v_mul_hi_u32_u24_e64 v5, v255, v255     ; encoding: [0x05,0x00,0x0c,0xd5,0xff,0xff,0x03,0x02]

v_mul_hi_u32_u24_e64 v5, s1, s2
// GFX11: v_mul_hi_u32_u24_e64 v5, s1, s2         ; encoding: [0x05,0x00,0x0c,0xd5,0x01,0x04,0x00,0x02]

v_mul_hi_u32_u24_e64 v5, s105, s105
// GFX11: v_mul_hi_u32_u24_e64 v5, s105, s105     ; encoding: [0x05,0x00,0x0c,0xd5,0x69,0xd2,0x00,0x02]

v_mul_hi_u32_u24_e64 v5, vcc_lo, ttmp15
// GFX11: v_mul_hi_u32_u24_e64 v5, vcc_lo, ttmp15 ; encoding: [0x05,0x00,0x0c,0xd5,0x6a,0xf6,0x00,0x02]

v_mul_hi_u32_u24_e64 v5, vcc_hi, 0xaf123456
// GFX11: v_mul_hi_u32_u24_e64 v5, vcc_hi, 0xaf123456 ; encoding: [0x05,0x00,0x0c,0xd5,0x6b,0xfe,0x01,0x02,0x56,0x34,0x12,0xaf]

v_mul_hi_u32_u24_e64 v5, ttmp15, src_scc
// GFX11: v_mul_hi_u32_u24_e64 v5, ttmp15, src_scc ; encoding: [0x05,0x00,0x0c,0xd5,0x7b,0xfa,0x01,0x02]

v_mul_hi_u32_u24_e64 v5, m0, 0.5
// GFX11: v_mul_hi_u32_u24_e64 v5, m0, 0.5        ; encoding: [0x05,0x00,0x0c,0xd5,0x7d,0xe0,0x01,0x02]

v_mul_hi_u32_u24_e64 v5, exec_lo, -1
// GFX11: v_mul_hi_u32_u24_e64 v5, exec_lo, -1    ; encoding: [0x05,0x00,0x0c,0xd5,0x7e,0x82,0x01,0x02]

v_mul_hi_u32_u24_e64 v5, exec_hi, null
// GFX11: v_mul_hi_u32_u24_e64 v5, exec_hi, null  ; encoding: [0x05,0x00,0x0c,0xd5,0x7f,0xf8,0x00,0x02]

v_mul_hi_u32_u24_e64 v5, null, exec_lo
// GFX11: v_mul_hi_u32_u24_e64 v5, null, exec_lo  ; encoding: [0x05,0x00,0x0c,0xd5,0x7c,0xfc,0x00,0x02]

v_mul_hi_u32_u24_e64 v5, -1, exec_hi
// GFX11: v_mul_hi_u32_u24_e64 v5, -1, exec_hi    ; encoding: [0x05,0x00,0x0c,0xd5,0xc1,0xfe,0x00,0x02]

v_mul_hi_u32_u24_e64 v5, 0.5, m0
// GFX11: v_mul_hi_u32_u24_e64 v5, 0.5, m0        ; encoding: [0x05,0x00,0x0c,0xd5,0xf0,0xfa,0x00,0x02]

v_mul_hi_u32_u24_e64 v5, src_scc, vcc_lo
// GFX11: v_mul_hi_u32_u24_e64 v5, src_scc, vcc_lo ; encoding: [0x05,0x00,0x0c,0xd5,0xfd,0xd4,0x00,0x02]

v_mul_hi_u32_u24_e64 v255, 0xaf123456, vcc_hi
// GFX11: v_mul_hi_u32_u24_e64 v255, 0xaf123456, vcc_hi ; encoding: [0xff,0x00,0x0c,0xd5,0xff,0xd6,0x00,0x02,0x56,0x34,0x12,0xaf]

v_mul_i32_i24_e64 v5, v1, v2
// GFX11: v_mul_i32_i24_e64 v5, v1, v2            ; encoding: [0x05,0x00,0x09,0xd5,0x01,0x05,0x02,0x02]

v_mul_i32_i24_e64 v5, v255, v255
// GFX11: v_mul_i32_i24_e64 v5, v255, v255        ; encoding: [0x05,0x00,0x09,0xd5,0xff,0xff,0x03,0x02]

v_mul_i32_i24_e64 v5, s1, s2
// GFX11: v_mul_i32_i24_e64 v5, s1, s2            ; encoding: [0x05,0x00,0x09,0xd5,0x01,0x04,0x00,0x02]

v_mul_i32_i24_e64 v5, s105, s105
// GFX11: v_mul_i32_i24_e64 v5, s105, s105        ; encoding: [0x05,0x00,0x09,0xd5,0x69,0xd2,0x00,0x02]

v_mul_i32_i24_e64 v5, vcc_lo, ttmp15
// GFX11: v_mul_i32_i24_e64 v5, vcc_lo, ttmp15    ; encoding: [0x05,0x00,0x09,0xd5,0x6a,0xf6,0x00,0x02]

v_mul_i32_i24_e64 v5, vcc_hi, 0xaf123456
// GFX11: v_mul_i32_i24_e64 v5, vcc_hi, 0xaf123456 ; encoding: [0x05,0x00,0x09,0xd5,0x6b,0xfe,0x01,0x02,0x56,0x34,0x12,0xaf]

v_mul_i32_i24_e64 v5, ttmp15, src_scc
// GFX11: v_mul_i32_i24_e64 v5, ttmp15, src_scc   ; encoding: [0x05,0x00,0x09,0xd5,0x7b,0xfa,0x01,0x02]

v_mul_i32_i24_e64 v5, m0, 0.5
// GFX11: v_mul_i32_i24_e64 v5, m0, 0.5           ; encoding: [0x05,0x00,0x09,0xd5,0x7d,0xe0,0x01,0x02]

v_mul_i32_i24_e64 v5, exec_lo, -1
// GFX11: v_mul_i32_i24_e64 v5, exec_lo, -1       ; encoding: [0x05,0x00,0x09,0xd5,0x7e,0x82,0x01,0x02]

v_mul_i32_i24_e64 v5, exec_hi, null
// GFX11: v_mul_i32_i24_e64 v5, exec_hi, null     ; encoding: [0x05,0x00,0x09,0xd5,0x7f,0xf8,0x00,0x02]

v_mul_i32_i24_e64 v5, null, exec_lo
// GFX11: v_mul_i32_i24_e64 v5, null, exec_lo     ; encoding: [0x05,0x00,0x09,0xd5,0x7c,0xfc,0x00,0x02]

v_mul_i32_i24_e64 v5, -1, exec_hi
// GFX11: v_mul_i32_i24_e64 v5, -1, exec_hi       ; encoding: [0x05,0x00,0x09,0xd5,0xc1,0xfe,0x00,0x02]

v_mul_i32_i24_e64 v5, 0.5, m0
// GFX11: v_mul_i32_i24_e64 v5, 0.5, m0           ; encoding: [0x05,0x00,0x09,0xd5,0xf0,0xfa,0x00,0x02]

v_mul_i32_i24_e64 v5, src_scc, vcc_lo
// GFX11: v_mul_i32_i24_e64 v5, src_scc, vcc_lo   ; encoding: [0x05,0x00,0x09,0xd5,0xfd,0xd4,0x00,0x02]

v_mul_i32_i24_e64 v255, 0xaf123456, vcc_hi clamp
// GFX11: v_mul_i32_i24_e64 v255, 0xaf123456, vcc_hi clamp ; encoding: [0xff,0x80,0x09,0xd5,0xff,0xd6,0x00,0x02,0x56,0x34,0x12,0xaf]

v_mul_legacy_f32_e64 v5, v1, v2
// GFX11: v_mul_dx9_zero_f32_e64 v5, v1, v2       ; encoding: [0x05,0x00,0x07,0xd5,0x01,0x05,0x02,0x02]

v_mul_legacy_f32_e64 v5, v255, v255
// GFX11: v_mul_dx9_zero_f32_e64 v5, v255, v255   ; encoding: [0x05,0x00,0x07,0xd5,0xff,0xff,0x03,0x02]

v_mul_legacy_f32_e64 v5, s1, s2
// GFX11: v_mul_dx9_zero_f32_e64 v5, s1, s2       ; encoding: [0x05,0x00,0x07,0xd5,0x01,0x04,0x00,0x02]

v_mul_legacy_f32_e64 v5, s105, s105
// GFX11: v_mul_dx9_zero_f32_e64 v5, s105, s105   ; encoding: [0x05,0x00,0x07,0xd5,0x69,0xd2,0x00,0x02]

v_mul_legacy_f32_e64 v5, vcc_lo, ttmp15
// GFX11: v_mul_dx9_zero_f32_e64 v5, vcc_lo, ttmp15 ; encoding: [0x05,0x00,0x07,0xd5,0x6a,0xf6,0x00,0x02]

v_mul_legacy_f32_e64 v5, vcc_hi, 0xaf123456
// GFX11: v_mul_dx9_zero_f32_e64 v5, vcc_hi, 0xaf123456 ; encoding: [0x05,0x00,0x07,0xd5,0x6b,0xfe,0x01,0x02,0x56,0x34,0x12,0xaf]

v_mul_legacy_f32_e64 v5, ttmp15, src_scc
// GFX11: v_mul_dx9_zero_f32_e64 v5, ttmp15, src_scc ; encoding: [0x05,0x00,0x07,0xd5,0x7b,0xfa,0x01,0x02]

v_mul_legacy_f32_e64 v5, m0, 0.5
// GFX11: v_mul_dx9_zero_f32_e64 v5, m0, 0.5      ; encoding: [0x05,0x00,0x07,0xd5,0x7d,0xe0,0x01,0x02]

v_mul_legacy_f32_e64 v5, exec_lo, -1
// GFX11: v_mul_dx9_zero_f32_e64 v5, exec_lo, -1  ; encoding: [0x05,0x00,0x07,0xd5,0x7e,0x82,0x01,0x02]

v_mul_legacy_f32_e64 v5, |exec_hi|, null
// GFX11: v_mul_dx9_zero_f32_e64 v5, |exec_hi|, null ; encoding: [0x05,0x01,0x07,0xd5,0x7f,0xf8,0x00,0x02]

v_mul_legacy_f32_e64 v5, null, exec_lo
// GFX11: v_mul_dx9_zero_f32_e64 v5, null, exec_lo ; encoding: [0x05,0x00,0x07,0xd5,0x7c,0xfc,0x00,0x02]

v_mul_legacy_f32_e64 v5, -1, exec_hi
// GFX11: v_mul_dx9_zero_f32_e64 v5, -1, exec_hi  ; encoding: [0x05,0x00,0x07,0xd5,0xc1,0xfe,0x00,0x02]

v_mul_legacy_f32_e64 v5, 0.5, -m0 mul:2
// GFX11: v_mul_dx9_zero_f32_e64 v5, 0.5, -m0 mul:2 ; encoding: [0x05,0x00,0x07,0xd5,0xf0,0xfa,0x00,0x4a]

v_mul_legacy_f32_e64 v5, -src_scc, |vcc_lo| mul:4
// GFX11: v_mul_dx9_zero_f32_e64 v5, -src_scc, |vcc_lo| mul:4 ; encoding: [0x05,0x02,0x07,0xd5,0xfd,0xd4,0x00,0x32]

v_mul_legacy_f32_e64 v255, -|0xaf123456|, -|vcc_hi| clamp div:2
// GFX11: v_mul_dx9_zero_f32_e64 v255, -|0xaf123456|, -|vcc_hi| clamp div:2 ; encoding: [0xff,0x83,0x07,0xd5,0xff,0xd6,0x00,0x7a,0x56,0x34,0x12,0xaf]

v_mul_u32_u24_e64 v5, v1, v2
// GFX11: v_mul_u32_u24_e64 v5, v1, v2            ; encoding: [0x05,0x00,0x0b,0xd5,0x01,0x05,0x02,0x02]

v_mul_u32_u24_e64 v5, v255, v255
// GFX11: v_mul_u32_u24_e64 v5, v255, v255        ; encoding: [0x05,0x00,0x0b,0xd5,0xff,0xff,0x03,0x02]

v_mul_u32_u24_e64 v5, s1, s2
// GFX11: v_mul_u32_u24_e64 v5, s1, s2            ; encoding: [0x05,0x00,0x0b,0xd5,0x01,0x04,0x00,0x02]

v_mul_u32_u24_e64 v5, s105, s105
// GFX11: v_mul_u32_u24_e64 v5, s105, s105        ; encoding: [0x05,0x00,0x0b,0xd5,0x69,0xd2,0x00,0x02]

v_mul_u32_u24_e64 v5, vcc_lo, ttmp15
// GFX11: v_mul_u32_u24_e64 v5, vcc_lo, ttmp15    ; encoding: [0x05,0x00,0x0b,0xd5,0x6a,0xf6,0x00,0x02]

v_mul_u32_u24_e64 v5, vcc_hi, 0xaf123456
// GFX11: v_mul_u32_u24_e64 v5, vcc_hi, 0xaf123456 ; encoding: [0x05,0x00,0x0b,0xd5,0x6b,0xfe,0x01,0x02,0x56,0x34,0x12,0xaf]

v_mul_u32_u24_e64 v5, ttmp15, src_scc
// GFX11: v_mul_u32_u24_e64 v5, ttmp15, src_scc   ; encoding: [0x05,0x00,0x0b,0xd5,0x7b,0xfa,0x01,0x02]

v_mul_u32_u24_e64 v5, m0, 0.5
// GFX11: v_mul_u32_u24_e64 v5, m0, 0.5           ; encoding: [0x05,0x00,0x0b,0xd5,0x7d,0xe0,0x01,0x02]

v_mul_u32_u24_e64 v5, exec_lo, -1
// GFX11: v_mul_u32_u24_e64 v5, exec_lo, -1       ; encoding: [0x05,0x00,0x0b,0xd5,0x7e,0x82,0x01,0x02]

v_mul_u32_u24_e64 v5, exec_hi, null
// GFX11: v_mul_u32_u24_e64 v5, exec_hi, null     ; encoding: [0x05,0x00,0x0b,0xd5,0x7f,0xf8,0x00,0x02]

v_mul_u32_u24_e64 v5, null, exec_lo
// GFX11: v_mul_u32_u24_e64 v5, null, exec_lo     ; encoding: [0x05,0x00,0x0b,0xd5,0x7c,0xfc,0x00,0x02]

v_mul_u32_u24_e64 v5, -1, exec_hi
// GFX11: v_mul_u32_u24_e64 v5, -1, exec_hi       ; encoding: [0x05,0x00,0x0b,0xd5,0xc1,0xfe,0x00,0x02]

v_mul_u32_u24_e64 v5, 0.5, m0
// GFX11: v_mul_u32_u24_e64 v5, 0.5, m0           ; encoding: [0x05,0x00,0x0b,0xd5,0xf0,0xfa,0x00,0x02]

v_mul_u32_u24_e64 v5, src_scc, vcc_lo
// GFX11: v_mul_u32_u24_e64 v5, src_scc, vcc_lo   ; encoding: [0x05,0x00,0x0b,0xd5,0xfd,0xd4,0x00,0x02]

v_mul_u32_u24_e64 v255, 0xaf123456, vcc_hi clamp
// GFX11: v_mul_u32_u24_e64 v255, 0xaf123456, vcc_hi clamp ; encoding: [0xff,0x80,0x0b,0xd5,0xff,0xd6,0x00,0x02,0x56,0x34,0x12,0xaf]

v_or_b32_e64 v5, v1, v2
// GFX11: v_or_b32_e64 v5, v1, v2                 ; encoding: [0x05,0x00,0x1c,0xd5,0x01,0x05,0x02,0x02]

v_or_b32_e64 v5, v255, v255
// GFX11: v_or_b32_e64 v5, v255, v255             ; encoding: [0x05,0x00,0x1c,0xd5,0xff,0xff,0x03,0x02]

v_or_b32_e64 v5, s1, s2
// GFX11: v_or_b32_e64 v5, s1, s2                 ; encoding: [0x05,0x00,0x1c,0xd5,0x01,0x04,0x00,0x02]

v_or_b32_e64 v5, s105, s105
// GFX11: v_or_b32_e64 v5, s105, s105             ; encoding: [0x05,0x00,0x1c,0xd5,0x69,0xd2,0x00,0x02]

v_or_b32_e64 v5, vcc_lo, ttmp15
// GFX11: v_or_b32_e64 v5, vcc_lo, ttmp15         ; encoding: [0x05,0x00,0x1c,0xd5,0x6a,0xf6,0x00,0x02]

v_or_b32_e64 v5, vcc_hi, 0xaf123456
// GFX11: v_or_b32_e64 v5, vcc_hi, 0xaf123456     ; encoding: [0x05,0x00,0x1c,0xd5,0x6b,0xfe,0x01,0x02,0x56,0x34,0x12,0xaf]

v_or_b32_e64 v5, ttmp15, src_scc
// GFX11: v_or_b32_e64 v5, ttmp15, src_scc        ; encoding: [0x05,0x00,0x1c,0xd5,0x7b,0xfa,0x01,0x02]

v_or_b32_e64 v5, m0, 0.5
// GFX11: v_or_b32_e64 v5, m0, 0.5                ; encoding: [0x05,0x00,0x1c,0xd5,0x7d,0xe0,0x01,0x02]

v_or_b32_e64 v5, exec_lo, -1
// GFX11: v_or_b32_e64 v5, exec_lo, -1            ; encoding: [0x05,0x00,0x1c,0xd5,0x7e,0x82,0x01,0x02]

v_or_b32_e64 v5, exec_hi, null
// GFX11: v_or_b32_e64 v5, exec_hi, null          ; encoding: [0x05,0x00,0x1c,0xd5,0x7f,0xf8,0x00,0x02]

v_or_b32_e64 v5, null, exec_lo
// GFX11: v_or_b32_e64 v5, null, exec_lo          ; encoding: [0x05,0x00,0x1c,0xd5,0x7c,0xfc,0x00,0x02]

v_or_b32_e64 v5, -1, exec_hi
// GFX11: v_or_b32_e64 v5, -1, exec_hi            ; encoding: [0x05,0x00,0x1c,0xd5,0xc1,0xfe,0x00,0x02]

v_or_b32_e64 v5, 0.5, m0
// GFX11: v_or_b32_e64 v5, 0.5, m0                ; encoding: [0x05,0x00,0x1c,0xd5,0xf0,0xfa,0x00,0x02]

v_or_b32_e64 v5, src_scc, vcc_lo
// GFX11: v_or_b32_e64 v5, src_scc, vcc_lo        ; encoding: [0x05,0x00,0x1c,0xd5,0xfd,0xd4,0x00,0x02]

v_or_b32_e64 v255, 0xaf123456, vcc_hi
// GFX11: v_or_b32_e64 v255, 0xaf123456, vcc_hi   ; encoding: [0xff,0x00,0x1c,0xd5,0xff,0xd6,0x00,0x02,0x56,0x34,0x12,0xaf]

v_sub_co_ci_u32_e64 v5, s6, v1, 0xaf123456, s3
// W32: v_sub_co_ci_u32_e64 v5, s6, v1, 0xaf123456, s3 ; encoding: [0x05,0x06,0x21,0xd5,0x01,0xff,0x0d,0x00,0x56,0x34,0x12,0xaf]
// W64-ERR: :[[@LINE-2]]:25: error: invalid operand for instruction

v_sub_co_ci_u32_e64 v5, s6, v255, src_scc, s3
// W32: v_sub_co_ci_u32_e64 v5, s6, v255, src_scc, s3 ; encoding: [0x05,0x06,0x21,0xd5,0xff,0xfb,0x0d,0x00]
// W64-ERR: :[[@LINE-2]]:25: error: invalid operand for instruction

v_sub_co_ci_u32_e64 v5, s6, s105, s105, s3
// W32: v_sub_co_ci_u32_e64 v5, s6, s105, s105, s3 ; encoding: [0x05,0x06,0x21,0xd5,0x69,0xd2,0x0c,0x00]
// W64-ERR: :[[@LINE-2]]:25: error: invalid operand for instruction

v_sub_co_ci_u32_e64 v5, s6, vcc_lo, v2, s3
// W32: v_sub_co_ci_u32_e64 v5, s6, vcc_lo, v2, s3 ; encoding: [0x05,0x06,0x21,0xd5,0x6a,0x04,0x0e,0x00]
// W64-ERR: :[[@LINE-2]]:25: error: invalid operand for instruction

v_sub_co_ci_u32_e64 v5, s6, vcc_hi, v255, s3
// W32: v_sub_co_ci_u32_e64 v5, s6, vcc_hi, v255, s3 ; encoding: [0x05,0x06,0x21,0xd5,0x6b,0xfe,0x0f,0x00]
// W64-ERR: :[[@LINE-2]]:25: error: invalid operand for instruction

v_sub_co_ci_u32_e64 v5, s6, ttmp15, ttmp15, s3
// W32: v_sub_co_ci_u32_e64 v5, s6, ttmp15, ttmp15, s3 ; encoding: [0x05,0x06,0x21,0xd5,0x7b,0xf6,0x0c,0x00]
// W64-ERR: :[[@LINE-2]]:25: error: invalid operand for instruction

v_sub_co_ci_u32_e64 v5, s6, m0, 0.5, s3
// W32: v_sub_co_ci_u32_e64 v5, s6, m0, 0.5, s3 ; encoding: [0x05,0x06,0x21,0xd5,0x7d,0xe0,0x0d,0x00]
// W64-ERR: :[[@LINE-2]]:25: error: invalid operand for instruction

v_sub_co_ci_u32_e64 v5, s6, exec_lo, exec_lo, s3
// W32: v_sub_co_ci_u32_e64 v5, s6, exec_lo, exec_lo, s3 ; encoding: [0x05,0x06,0x21,0xd5,0x7e,0xfc,0x0c,0x00]
// W64-ERR: :[[@LINE-2]]:25: error: invalid operand for instruction

v_sub_co_ci_u32_e64 v5, s6, exec_hi, -1, s3
// W32: v_sub_co_ci_u32_e64 v5, s6, exec_hi, -1, s3 ; encoding: [0x05,0x06,0x21,0xd5,0x7f,0x82,0x0d,0x00]
// W64-ERR: :[[@LINE-2]]:25: error: invalid operand for instruction

v_sub_co_ci_u32_e64 v5, s105, null, exec_hi, s105
// W32: v_sub_co_ci_u32_e64 v5, s105, null, exec_hi, s105 ; encoding: [0x05,0x69,0x21,0xd5,0x7c,0xfe,0xa4,0x01]
// W64-ERR: :[[@LINE-2]]:25: error: invalid operand for instruction

v_sub_co_ci_u32_e64 v5, vcc_lo, -1, m0, vcc_lo
// W32: v_sub_co_ci_u32_e64 v5, vcc_lo, -1, m0, vcc_lo ; encoding: [0x05,0x6a,0x21,0xd5,0xc1,0xfa,0xa8,0x01]
// W64-ERR: :[[@LINE-2]]:25: error: invalid operand for instruction

v_sub_co_ci_u32_e64 v5, vcc_hi, 0.5, vcc_lo, vcc_hi
// W32: v_sub_co_ci_u32_e64 v5, vcc_hi, 0.5, vcc_lo, vcc_hi ; encoding: [0x05,0x6b,0x21,0xd5,0xf0,0xd4,0xac,0x01]
// W64-ERR: :[[@LINE-2]]:25: error: invalid operand for instruction

v_sub_co_ci_u32_e64 v5, ttmp15, src_scc, null, ttmp15
// W32: v_sub_co_ci_u32_e64 v5, ttmp15, src_scc, null, ttmp15 ; encoding: [0x05,0x7b,0x21,0xd5,0xfd,0xf8,0xec,0x01]
// W64-ERR: :[[@LINE-2]]:25: error: invalid operand for instruction

v_sub_co_ci_u32_e64 v5, s[12:13], v1, 0xaf123456, s[6:7]
// W32-ERR: :[[@LINE-1]]:25: error: invalid operand for instruction
// W64: v_sub_co_ci_u32_e64 v5, s[12:13], v1, 0xaf123456, s[6:7] ; encoding: [0x05,0x0c,0x21,0xd5,0x01,0xff,0x19,0x00,0x56,0x34,0x12,0xaf]

v_sub_co_ci_u32_e64 v5, s[12:13], v255, src_scc, s[6:7]
// W32-ERR: :[[@LINE-1]]:25: error: invalid operand for instruction
// W64: v_sub_co_ci_u32_e64 v5, s[12:13], v255, src_scc, s[6:7] ; encoding: [0x05,0x0c,0x21,0xd5,0xff,0xfb,0x19,0x00]

v_sub_co_ci_u32_e64 v5, s[12:13], s105, s105, s[6:7]
// W32-ERR: :[[@LINE-1]]:25: error: invalid operand for instruction
// W64: v_sub_co_ci_u32_e64 v5, s[12:13], s105, s105, s[6:7] ; encoding: [0x05,0x0c,0x21,0xd5,0x69,0xd2,0x18,0x00]

v_sub_co_ci_u32_e64 v5, s[12:13], vcc_lo, v2, s[6:7]
// W32-ERR: :[[@LINE-1]]:25: error: invalid operand for instruction
// W64: v_sub_co_ci_u32_e64 v5, s[12:13], vcc_lo, v2, s[6:7] ; encoding: [0x05,0x0c,0x21,0xd5,0x6a,0x04,0x1a,0x00]

v_sub_co_ci_u32_e64 v5, s[12:13], vcc_hi, v255, s[6:7]
// W32-ERR: :[[@LINE-1]]:25: error: invalid operand for instruction
// W64: v_sub_co_ci_u32_e64 v5, s[12:13], vcc_hi, v255, s[6:7] ; encoding: [0x05,0x0c,0x21,0xd5,0x6b,0xfe,0x1b,0x00]

v_sub_co_ci_u32_e64 v5, s[12:13], ttmp15, ttmp15, s[6:7]
// W32-ERR: :[[@LINE-1]]:25: error: invalid operand for instruction
// W64: v_sub_co_ci_u32_e64 v5, s[12:13], ttmp15, ttmp15, s[6:7] ; encoding: [0x05,0x0c,0x21,0xd5,0x7b,0xf6,0x18,0x00]

v_sub_co_ci_u32_e64 v5, s[12:13], m0, 0.5, s[6:7]
// W32-ERR: :[[@LINE-1]]:25: error: invalid operand for instruction
// W64: v_sub_co_ci_u32_e64 v5, s[12:13], m0, 0.5, s[6:7] ; encoding: [0x05,0x0c,0x21,0xd5,0x7d,0xe0,0x19,0x00]

v_sub_co_ci_u32_e64 v5, s[12:13], exec_lo, exec_lo, s[6:7]
// W32-ERR: :[[@LINE-1]]:25: error: invalid operand for instruction
// W64: v_sub_co_ci_u32_e64 v5, s[12:13], exec_lo, exec_lo, s[6:7] ; encoding: [0x05,0x0c,0x21,0xd5,0x7e,0xfc,0x18,0x00]

v_sub_co_ci_u32_e64 v5, s[12:13], exec_hi, -1, s[6:7]
// W32-ERR: :[[@LINE-1]]:25: error: invalid operand for instruction
// W64: v_sub_co_ci_u32_e64 v5, s[12:13], exec_hi, -1, s[6:7] ; encoding: [0x05,0x0c,0x21,0xd5,0x7f,0x82,0x19,0x00]

v_sub_co_ci_u32_e64 v5, s[12:13], null, exec_hi, s[6:7]
// W32-ERR: :[[@LINE-1]]:25: error: invalid operand for instruction
// W64: v_sub_co_ci_u32_e64 v5, s[12:13], null, exec_hi, s[6:7] ; encoding: [0x05,0x0c,0x21,0xd5,0x7c,0xfe,0x18,0x00]

v_sub_co_ci_u32_e64 v5, s[104:105], -1, m0, s[104:105]
// W32-ERR: :[[@LINE-1]]:25: error: invalid operand for instruction
// W64: v_sub_co_ci_u32_e64 v5, s[104:105], -1, m0, s[104:105] ; encoding: [0x05,0x68,0x21,0xd5,0xc1,0xfa,0xa0,0x01]

v_sub_co_ci_u32_e64 v5, vcc, 0.5, vcc_lo, vcc
// W32-ERR: :[[@LINE-1]]:25: error: invalid operand for instruction
// W64: v_sub_co_ci_u32_e64 v5, vcc, 0.5, vcc_lo, vcc ; encoding: [0x05,0x6a,0x21,0xd5,0xf0,0xd4,0xa8,0x01]

v_sub_co_ci_u32_e64 v5, ttmp[14:15], src_scc, null, ttmp[14:15]
// W32-ERR: :[[@LINE-1]]:25: error: invalid operand for instruction
// W64: v_sub_co_ci_u32_e64 v5, ttmp[14:15], src_scc, null, ttmp[14:15] ; encoding: [0x05,0x7a,0x21,0xd5,0xfd,0xf8,0xe8,0x01]

v_sub_co_ci_u32_e64 v255, null, 0xaf123456, vcc_hi, null clamp
// GFX11: v_sub_co_ci_u32_e64 v255, null, 0xaf123456, vcc_hi, null clamp ; encoding: [0xff,0xfc,0x21,0xd5,0xff,0xd6,0xf0,0x01,0x56,0x34,0x12,0xaf]

v_sub_f16_e64 v5.l, v1.l, v2.l
// GFX11: v_sub_f16_e64 v5.l, v1.l, v2.l          ; encoding: [0x05,0x00,0x33,0xd5,0x01,0x05,0x02,0x02]

v_sub_f16_e64 v5.l, v255.l, v255.l
// GFX11: v_sub_f16_e64 v5.l, v255.l, v255.l      ; encoding: [0x05,0x00,0x33,0xd5,0xff,0xff,0x03,0x02]

v_sub_f16_e64 v5.l, s1, s2
// GFX11: v_sub_f16_e64 v5.l, s1, s2              ; encoding: [0x05,0x00,0x33,0xd5,0x01,0x04,0x00,0x02]

v_sub_f16_e64 v5.l, s105, s105
// GFX11: v_sub_f16_e64 v5.l, s105, s105          ; encoding: [0x05,0x00,0x33,0xd5,0x69,0xd2,0x00,0x02]

v_sub_f16_e64 v5.l, vcc_lo, ttmp15
// GFX11: v_sub_f16_e64 v5.l, vcc_lo, ttmp15      ; encoding: [0x05,0x00,0x33,0xd5,0x6a,0xf6,0x00,0x02]

v_sub_f16_e64 v5.l, vcc_hi, 0xfe0b
// GFX11: v_sub_f16_e64 v5.l, vcc_hi, 0xfe0b      ; encoding: [0x05,0x00,0x33,0xd5,0x6b,0xfe,0x01,0x02,0x0b,0xfe,0x00,0x00]

v_sub_f16_e64 v5.l, ttmp15, src_scc
// GFX11: v_sub_f16_e64 v5.l, ttmp15, src_scc     ; encoding: [0x05,0x00,0x33,0xd5,0x7b,0xfa,0x01,0x02]

v_sub_f16_e64 v5.l, m0, 0.5
// GFX11: v_sub_f16_e64 v5.l, m0, 0.5             ; encoding: [0x05,0x00,0x33,0xd5,0x7d,0xe0,0x01,0x02]

v_sub_f16_e64 v5.l, exec_lo, -1
// GFX11: v_sub_f16_e64 v5.l, exec_lo, -1         ; encoding: [0x05,0x00,0x33,0xd5,0x7e,0x82,0x01,0x02]

v_sub_f16_e64 v5.l, |exec_hi|, null
// GFX11: v_sub_f16_e64 v5.l, |exec_hi|, null     ; encoding: [0x05,0x01,0x33,0xd5,0x7f,0xf8,0x00,0x02]

v_sub_f16_e64 v5.l, null, exec_lo
// GFX11: v_sub_f16_e64 v5.l, null, exec_lo       ; encoding: [0x05,0x00,0x33,0xd5,0x7c,0xfc,0x00,0x02]

v_sub_f16_e64 v5.l, -1, exec_hi
// GFX11: v_sub_f16_e64 v5.l, -1, exec_hi         ; encoding: [0x05,0x00,0x33,0xd5,0xc1,0xfe,0x00,0x02]

v_sub_f16_e64 v5.l, 0.5, -m0 mul:2
// GFX11: v_sub_f16_e64 v5.l, 0.5, -m0 mul:2      ; encoding: [0x05,0x00,0x33,0xd5,0xf0,0xfa,0x00,0x4a]

v_sub_f16_e64 v5.l, -src_scc, |vcc_lo| mul:4
// GFX11: v_sub_f16_e64 v5.l, -src_scc, |vcc_lo| mul:4 ; encoding: [0x05,0x02,0x33,0xd5,0xfd,0xd4,0x00,0x32]

v_sub_f16_e64 v255.l, -|0xfe0b|, -|vcc_hi| clamp div:2
// GFX11: v_sub_f16_e64 v255.l, -|0xfe0b|, -|vcc_hi| clamp div:2 ; encoding: [0xff,0x83,0x33,0xd5,0xff,0xd6,0x00,0x7a,0x0b,0xfe,0x00,0x00]

v_sub_f16_e64 v5.l, v1.h, v2.l
// GFX11: v_sub_f16_e64 v5.l, v1.h, v2.l op_sel:[1,0,0] ; encoding: [0x05,0x08,0x33,0xd5,0x01,0x05,0x02,0x02]

v_sub_f16_e64 v5.l, v255.l, v255.h
// GFX11: v_sub_f16_e64 v5.l, v255.l, v255.h op_sel:[0,1,0] ; encoding: [0x05,0x10,0x33,0xd5,0xff,0xff,0x03,0x02]

v_sub_f16_e64 v255.h, -|0xfe0b|, -|vcc_hi| clamp div:2
// GFX11: v_sub_f16_e64 v255.h, -|0xfe0b|, -|vcc_hi| op_sel:[0,0,1] clamp div:2 ; encoding: [0xff,0xc3,0x33,0xd5,0xff,0xd6,0x00,0x7a,0x0b,0xfe,0x00,0x00]

v_sub_f32_e64 v5, v1, v2
// GFX11: v_sub_f32_e64 v5, v1, v2                ; encoding: [0x05,0x00,0x04,0xd5,0x01,0x05,0x02,0x02]

v_sub_f32_e64 v5, v255, v255
// GFX11: v_sub_f32_e64 v5, v255, v255            ; encoding: [0x05,0x00,0x04,0xd5,0xff,0xff,0x03,0x02]

v_sub_f32_e64 v5, s1, s2
// GFX11: v_sub_f32_e64 v5, s1, s2                ; encoding: [0x05,0x00,0x04,0xd5,0x01,0x04,0x00,0x02]

v_sub_f32_e64 v5, s105, s105
// GFX11: v_sub_f32_e64 v5, s105, s105            ; encoding: [0x05,0x00,0x04,0xd5,0x69,0xd2,0x00,0x02]

v_sub_f32_e64 v5, vcc_lo, ttmp15
// GFX11: v_sub_f32_e64 v5, vcc_lo, ttmp15        ; encoding: [0x05,0x00,0x04,0xd5,0x6a,0xf6,0x00,0x02]

v_sub_f32_e64 v5, vcc_hi, 0xaf123456
// GFX11: v_sub_f32_e64 v5, vcc_hi, 0xaf123456    ; encoding: [0x05,0x00,0x04,0xd5,0x6b,0xfe,0x01,0x02,0x56,0x34,0x12,0xaf]

v_sub_f32_e64 v5, ttmp15, src_scc
// GFX11: v_sub_f32_e64 v5, ttmp15, src_scc       ; encoding: [0x05,0x00,0x04,0xd5,0x7b,0xfa,0x01,0x02]

v_sub_f32_e64 v5, m0, 0.5
// GFX11: v_sub_f32_e64 v5, m0, 0.5               ; encoding: [0x05,0x00,0x04,0xd5,0x7d,0xe0,0x01,0x02]

v_sub_f32_e64 v5, exec_lo, -1
// GFX11: v_sub_f32_e64 v5, exec_lo, -1           ; encoding: [0x05,0x00,0x04,0xd5,0x7e,0x82,0x01,0x02]

v_sub_f32_e64 v5, |exec_hi|, null
// GFX11: v_sub_f32_e64 v5, |exec_hi|, null       ; encoding: [0x05,0x01,0x04,0xd5,0x7f,0xf8,0x00,0x02]

v_sub_f32_e64 v5, null, exec_lo
// GFX11: v_sub_f32_e64 v5, null, exec_lo         ; encoding: [0x05,0x00,0x04,0xd5,0x7c,0xfc,0x00,0x02]

v_sub_f32_e64 v5, -1, exec_hi
// GFX11: v_sub_f32_e64 v5, -1, exec_hi           ; encoding: [0x05,0x00,0x04,0xd5,0xc1,0xfe,0x00,0x02]

v_sub_f32_e64 v5, 0.5, -m0 mul:2
// GFX11: v_sub_f32_e64 v5, 0.5, -m0 mul:2        ; encoding: [0x05,0x00,0x04,0xd5,0xf0,0xfa,0x00,0x4a]

v_sub_f32_e64 v5, -src_scc, |vcc_lo| mul:4
// GFX11: v_sub_f32_e64 v5, -src_scc, |vcc_lo| mul:4 ; encoding: [0x05,0x02,0x04,0xd5,0xfd,0xd4,0x00,0x32]

v_sub_f32_e64 v255, -|0xaf123456|, -|vcc_hi| clamp div:2
// GFX11: v_sub_f32_e64 v255, -|0xaf123456|, -|vcc_hi| clamp div:2 ; encoding: [0xff,0x83,0x04,0xd5,0xff,0xd6,0x00,0x7a,0x56,0x34,0x12,0xaf]

v_sub_nc_u32_e64 v5, v1, v2
// GFX11: v_sub_nc_u32_e64 v5, v1, v2             ; encoding: [0x05,0x00,0x26,0xd5,0x01,0x05,0x02,0x02]

v_sub_nc_u32_e64 v5, v255, v255
// GFX11: v_sub_nc_u32_e64 v5, v255, v255         ; encoding: [0x05,0x00,0x26,0xd5,0xff,0xff,0x03,0x02]

v_sub_nc_u32_e64 v5, s1, s2
// GFX11: v_sub_nc_u32_e64 v5, s1, s2             ; encoding: [0x05,0x00,0x26,0xd5,0x01,0x04,0x00,0x02]

v_sub_nc_u32_e64 v5, s105, s105
// GFX11: v_sub_nc_u32_e64 v5, s105, s105         ; encoding: [0x05,0x00,0x26,0xd5,0x69,0xd2,0x00,0x02]

v_sub_nc_u32_e64 v5, vcc_lo, ttmp15
// GFX11: v_sub_nc_u32_e64 v5, vcc_lo, ttmp15     ; encoding: [0x05,0x00,0x26,0xd5,0x6a,0xf6,0x00,0x02]

v_sub_nc_u32_e64 v5, vcc_hi, 0xaf123456
// GFX11: v_sub_nc_u32_e64 v5, vcc_hi, 0xaf123456 ; encoding: [0x05,0x00,0x26,0xd5,0x6b,0xfe,0x01,0x02,0x56,0x34,0x12,0xaf]

v_sub_nc_u32_e64 v5, ttmp15, src_scc
// GFX11: v_sub_nc_u32_e64 v5, ttmp15, src_scc    ; encoding: [0x05,0x00,0x26,0xd5,0x7b,0xfa,0x01,0x02]

v_sub_nc_u32_e64 v5, m0, 0.5
// GFX11: v_sub_nc_u32_e64 v5, m0, 0.5            ; encoding: [0x05,0x00,0x26,0xd5,0x7d,0xe0,0x01,0x02]

v_sub_nc_u32_e64 v5, exec_lo, -1
// GFX11: v_sub_nc_u32_e64 v5, exec_lo, -1        ; encoding: [0x05,0x00,0x26,0xd5,0x7e,0x82,0x01,0x02]

v_sub_nc_u32_e64 v5, exec_hi, null
// GFX11: v_sub_nc_u32_e64 v5, exec_hi, null      ; encoding: [0x05,0x00,0x26,0xd5,0x7f,0xf8,0x00,0x02]

v_sub_nc_u32_e64 v5, null, exec_lo
// GFX11: v_sub_nc_u32_e64 v5, null, exec_lo      ; encoding: [0x05,0x00,0x26,0xd5,0x7c,0xfc,0x00,0x02]

v_sub_nc_u32_e64 v5, -1, exec_hi
// GFX11: v_sub_nc_u32_e64 v5, -1, exec_hi        ; encoding: [0x05,0x00,0x26,0xd5,0xc1,0xfe,0x00,0x02]

v_sub_nc_u32_e64 v5, 0.5, m0
// GFX11: v_sub_nc_u32_e64 v5, 0.5, m0            ; encoding: [0x05,0x00,0x26,0xd5,0xf0,0xfa,0x00,0x02]

v_sub_nc_u32_e64 v5, src_scc, vcc_lo
// GFX11: v_sub_nc_u32_e64 v5, src_scc, vcc_lo    ; encoding: [0x05,0x00,0x26,0xd5,0xfd,0xd4,0x00,0x02]

v_sub_nc_u32_e64 v255, 0xaf123456, vcc_hi clamp
// GFX11: v_sub_nc_u32_e64 v255, 0xaf123456, vcc_hi clamp ; encoding: [0xff,0x80,0x26,0xd5,0xff,0xd6,0x00,0x02,0x56,0x34,0x12,0xaf]

v_subrev_co_ci_u32_e64 v5, s6, v1, 0xaf123456, s3
// W32: v_subrev_co_ci_u32_e64 v5, s6, v1, 0xaf123456, s3 ; encoding: [0x05,0x06,0x22,0xd5,0x01,0xff,0x0d,0x00,0x56,0x34,0x12,0xaf]
// W64-ERR: :[[@LINE-2]]:28: error: invalid operand for instruction

v_subrev_co_ci_u32_e64 v5, s6, v255, src_scc, s3
// W32: v_subrev_co_ci_u32_e64 v5, s6, v255, src_scc, s3 ; encoding: [0x05,0x06,0x22,0xd5,0xff,0xfb,0x0d,0x00]
// W64-ERR: :[[@LINE-2]]:28: error: invalid operand for instruction

v_subrev_co_ci_u32_e64 v5, s6, s105, s105, s3
// W32: v_subrev_co_ci_u32_e64 v5, s6, s105, s105, s3 ; encoding: [0x05,0x06,0x22,0xd5,0x69,0xd2,0x0c,0x00]
// W64-ERR: :[[@LINE-2]]:28: error: invalid operand for instruction

v_subrev_co_ci_u32_e64 v5, s6, vcc_lo, v2, s3
// W32: v_subrev_co_ci_u32_e64 v5, s6, vcc_lo, v2, s3 ; encoding: [0x05,0x06,0x22,0xd5,0x6a,0x04,0x0e,0x00]
// W64-ERR: :[[@LINE-2]]:28: error: invalid operand for instruction

v_subrev_co_ci_u32_e64 v5, s6, vcc_hi, v255, s3
// W32: v_subrev_co_ci_u32_e64 v5, s6, vcc_hi, v255, s3 ; encoding: [0x05,0x06,0x22,0xd5,0x6b,0xfe,0x0f,0x00]
// W64-ERR: :[[@LINE-2]]:28: error: invalid operand for instruction

v_subrev_co_ci_u32_e64 v5, s6, ttmp15, ttmp15, s3
// W32: v_subrev_co_ci_u32_e64 v5, s6, ttmp15, ttmp15, s3 ; encoding: [0x05,0x06,0x22,0xd5,0x7b,0xf6,0x0c,0x00]
// W64-ERR: :[[@LINE-2]]:28: error: invalid operand for instruction

v_subrev_co_ci_u32_e64 v5, s6, m0, 0.5, s3
// W32: v_subrev_co_ci_u32_e64 v5, s6, m0, 0.5, s3 ; encoding: [0x05,0x06,0x22,0xd5,0x7d,0xe0,0x0d,0x00]
// W64-ERR: :[[@LINE-2]]:28: error: invalid operand for instruction

v_subrev_co_ci_u32_e64 v5, s6, exec_lo, exec_lo, s3
// W32: v_subrev_co_ci_u32_e64 v5, s6, exec_lo, exec_lo, s3 ; encoding: [0x05,0x06,0x22,0xd5,0x7e,0xfc,0x0c,0x00]
// W64-ERR: :[[@LINE-2]]:28: error: invalid operand for instruction

v_subrev_co_ci_u32_e64 v5, s6, exec_hi, -1, s3
// W32: v_subrev_co_ci_u32_e64 v5, s6, exec_hi, -1, s3 ; encoding: [0x05,0x06,0x22,0xd5,0x7f,0x82,0x0d,0x00]
// W64-ERR: :[[@LINE-2]]:28: error: invalid operand for instruction

v_subrev_co_ci_u32_e64 v5, s105, null, exec_hi, s105
// W32: v_subrev_co_ci_u32_e64 v5, s105, null, exec_hi, s105 ; encoding: [0x05,0x69,0x22,0xd5,0x7c,0xfe,0xa4,0x01]
// W64-ERR: :[[@LINE-2]]:28: error: invalid operand for instruction

v_subrev_co_ci_u32_e64 v5, vcc_lo, -1, m0, vcc_lo
// W32: v_subrev_co_ci_u32_e64 v5, vcc_lo, -1, m0, vcc_lo ; encoding: [0x05,0x6a,0x22,0xd5,0xc1,0xfa,0xa8,0x01]
// W64-ERR: :[[@LINE-2]]:28: error: invalid operand for instruction

v_subrev_co_ci_u32_e64 v5, vcc_hi, 0.5, vcc_lo, vcc_hi
// W32: v_subrev_co_ci_u32_e64 v5, vcc_hi, 0.5, vcc_lo, vcc_hi ; encoding: [0x05,0x6b,0x22,0xd5,0xf0,0xd4,0xac,0x01]
// W64-ERR: :[[@LINE-2]]:28: error: invalid operand for instruction

v_subrev_co_ci_u32_e64 v5, ttmp15, src_scc, null, ttmp15
// W32: v_subrev_co_ci_u32_e64 v5, ttmp15, src_scc, null, ttmp15 ; encoding: [0x05,0x7b,0x22,0xd5,0xfd,0xf8,0xec,0x01]
// W64-ERR: :[[@LINE-2]]:28: error: invalid operand for instruction

v_subrev_co_ci_u32_e64 v5, s[12:13], v1, 0xaf123456, s[6:7]
// W32-ERR: :[[@LINE-1]]:28: error: invalid operand for instruction
// W64: v_subrev_co_ci_u32_e64 v5, s[12:13], v1, 0xaf123456, s[6:7] ; encoding: [0x05,0x0c,0x22,0xd5,0x01,0xff,0x19,0x00,0x56,0x34,0x12,0xaf]

v_subrev_co_ci_u32_e64 v5, s[12:13], v255, src_scc, s[6:7]
// W32-ERR: :[[@LINE-1]]:28: error: invalid operand for instruction
// W64: v_subrev_co_ci_u32_e64 v5, s[12:13], v255, src_scc, s[6:7] ; encoding: [0x05,0x0c,0x22,0xd5,0xff,0xfb,0x19,0x00]

v_subrev_co_ci_u32_e64 v5, s[12:13], s105, s105, s[6:7]
// W32-ERR: :[[@LINE-1]]:28: error: invalid operand for instruction
// W64: v_subrev_co_ci_u32_e64 v5, s[12:13], s105, s105, s[6:7] ; encoding: [0x05,0x0c,0x22,0xd5,0x69,0xd2,0x18,0x00]

v_subrev_co_ci_u32_e64 v5, s[12:13], vcc_lo, v2, s[6:7]
// W32-ERR: :[[@LINE-1]]:28: error: invalid operand for instruction
// W64: v_subrev_co_ci_u32_e64 v5, s[12:13], vcc_lo, v2, s[6:7] ; encoding: [0x05,0x0c,0x22,0xd5,0x6a,0x04,0x1a,0x00]

v_subrev_co_ci_u32_e64 v5, s[12:13], vcc_hi, v255, s[6:7]
// W32-ERR: :[[@LINE-1]]:28: error: invalid operand for instruction
// W64: v_subrev_co_ci_u32_e64 v5, s[12:13], vcc_hi, v255, s[6:7] ; encoding: [0x05,0x0c,0x22,0xd5,0x6b,0xfe,0x1b,0x00]

v_subrev_co_ci_u32_e64 v5, s[12:13], ttmp15, ttmp15, s[6:7]
// W32-ERR: :[[@LINE-1]]:28: error: invalid operand for instruction
// W64: v_subrev_co_ci_u32_e64 v5, s[12:13], ttmp15, ttmp15, s[6:7] ; encoding: [0x05,0x0c,0x22,0xd5,0x7b,0xf6,0x18,0x00]

v_subrev_co_ci_u32_e64 v5, s[12:13], m0, 0.5, s[6:7]
// W32-ERR: :[[@LINE-1]]:28: error: invalid operand for instruction
// W64: v_subrev_co_ci_u32_e64 v5, s[12:13], m0, 0.5, s[6:7] ; encoding: [0x05,0x0c,0x22,0xd5,0x7d,0xe0,0x19,0x00]

v_subrev_co_ci_u32_e64 v5, s[12:13], exec_lo, exec_lo, s[6:7]
// W32-ERR: :[[@LINE-1]]:28: error: invalid operand for instruction
// W64: v_subrev_co_ci_u32_e64 v5, s[12:13], exec_lo, exec_lo, s[6:7] ; encoding: [0x05,0x0c,0x22,0xd5,0x7e,0xfc,0x18,0x00]

v_subrev_co_ci_u32_e64 v5, s[12:13], exec_hi, -1, s[6:7]
// W32-ERR: :[[@LINE-1]]:28: error: invalid operand for instruction
// W64: v_subrev_co_ci_u32_e64 v5, s[12:13], exec_hi, -1, s[6:7] ; encoding: [0x05,0x0c,0x22,0xd5,0x7f,0x82,0x19,0x00]

v_subrev_co_ci_u32_e64 v5, s[12:13], null, exec_hi, s[6:7]
// W32-ERR: :[[@LINE-1]]:28: error: invalid operand for instruction
// W64: v_subrev_co_ci_u32_e64 v5, s[12:13], null, exec_hi, s[6:7] ; encoding: [0x05,0x0c,0x22,0xd5,0x7c,0xfe,0x18,0x00]

v_subrev_co_ci_u32_e64 v5, s[104:105], -1, m0, s[104:105]
// W32-ERR: :[[@LINE-1]]:28: error: invalid operand for instruction
// W64: v_subrev_co_ci_u32_e64 v5, s[104:105], -1, m0, s[104:105] ; encoding: [0x05,0x68,0x22,0xd5,0xc1,0xfa,0xa0,0x01]

v_subrev_co_ci_u32_e64 v5, vcc, 0.5, vcc_lo, vcc
// W32-ERR: :[[@LINE-1]]:28: error: invalid operand for instruction
// W64: v_subrev_co_ci_u32_e64 v5, vcc, 0.5, vcc_lo, vcc ; encoding: [0x05,0x6a,0x22,0xd5,0xf0,0xd4,0xa8,0x01]

v_subrev_co_ci_u32_e64 v5, ttmp[14:15], src_scc, null, ttmp[14:15]
// W32-ERR: :[[@LINE-1]]:28: error: invalid operand for instruction
// W64: v_subrev_co_ci_u32_e64 v5, ttmp[14:15], src_scc, null, ttmp[14:15] ; encoding: [0x05,0x7a,0x22,0xd5,0xfd,0xf8,0xe8,0x01]

v_subrev_co_ci_u32_e64 v255, null, 0xaf123456, vcc_hi, null clamp
// GFX11: v_subrev_co_ci_u32_e64 v255, null, 0xaf123456, vcc_hi, null clamp ; encoding: [0xff,0xfc,0x22,0xd5,0xff,0xd6,0xf0,0x01,0x56,0x34,0x12,0xaf]

v_subrev_f16_e64 v5.l, v1.l, v2.l
// GFX11: v_subrev_f16_e64 v5.l, v1.l, v2.l       ; encoding: [0x05,0x00,0x34,0xd5,0x01,0x05,0x02,0x02]

v_subrev_f16_e64 v5.l, v255.l, v255.l
// GFX11: v_subrev_f16_e64 v5.l, v255.l, v255.l   ; encoding: [0x05,0x00,0x34,0xd5,0xff,0xff,0x03,0x02]

v_subrev_f16_e64 v5.l, s1, s2
// GFX11: v_subrev_f16_e64 v5.l, s1, s2           ; encoding: [0x05,0x00,0x34,0xd5,0x01,0x04,0x00,0x02]

v_subrev_f16_e64 v5.l, s105, s105
// GFX11: v_subrev_f16_e64 v5.l, s105, s105       ; encoding: [0x05,0x00,0x34,0xd5,0x69,0xd2,0x00,0x02]

v_subrev_f16_e64 v5.l, vcc_lo, ttmp15
// GFX11: v_subrev_f16_e64 v5.l, vcc_lo, ttmp15   ; encoding: [0x05,0x00,0x34,0xd5,0x6a,0xf6,0x00,0x02]

v_subrev_f16_e64 v5.l, vcc_hi, 0xfe0b
// GFX11: v_subrev_f16_e64 v5.l, vcc_hi, 0xfe0b   ; encoding: [0x05,0x00,0x34,0xd5,0x6b,0xfe,0x01,0x02,0x0b,0xfe,0x00,0x00]

v_subrev_f16_e64 v5.l, ttmp15, src_scc
// GFX11: v_subrev_f16_e64 v5.l, ttmp15, src_scc  ; encoding: [0x05,0x00,0x34,0xd5,0x7b,0xfa,0x01,0x02]

v_subrev_f16_e64 v5.l, m0, 0.5
// GFX11: v_subrev_f16_e64 v5.l, m0, 0.5          ; encoding: [0x05,0x00,0x34,0xd5,0x7d,0xe0,0x01,0x02]

v_subrev_f16_e64 v5.l, exec_lo, -1
// GFX11: v_subrev_f16_e64 v5.l, exec_lo, -1      ; encoding: [0x05,0x00,0x34,0xd5,0x7e,0x82,0x01,0x02]

v_subrev_f16_e64 v5.l, |exec_hi|, null
// GFX11: v_subrev_f16_e64 v5.l, |exec_hi|, null  ; encoding: [0x05,0x01,0x34,0xd5,0x7f,0xf8,0x00,0x02]

v_subrev_f16_e64 v5.l, null, exec_lo
// GFX11: v_subrev_f16_e64 v5.l, null, exec_lo    ; encoding: [0x05,0x00,0x34,0xd5,0x7c,0xfc,0x00,0x02]

v_subrev_f16_e64 v5.l, -1, exec_hi
// GFX11: v_subrev_f16_e64 v5.l, -1, exec_hi      ; encoding: [0x05,0x00,0x34,0xd5,0xc1,0xfe,0x00,0x02]

v_subrev_f16_e64 v5.l, 0.5, -m0 mul:2
// GFX11: v_subrev_f16_e64 v5.l, 0.5, -m0 mul:2   ; encoding: [0x05,0x00,0x34,0xd5,0xf0,0xfa,0x00,0x4a]

v_subrev_f16_e64 v5.l, -src_scc, |vcc_lo| mul:4
// GFX11: v_subrev_f16_e64 v5.l, -src_scc, |vcc_lo| mul:4 ; encoding: [0x05,0x02,0x34,0xd5,0xfd,0xd4,0x00,0x32]

v_subrev_f16_e64 v255.l, -|0xfe0b|, -|vcc_hi| clamp div:2
// GFX11: v_subrev_f16_e64 v255.l, -|0xfe0b|, -|vcc_hi| clamp div:2 ; encoding: [0xff,0x83,0x34,0xd5,0xff,0xd6,0x00,0x7a,0x0b,0xfe,0x00,0x00]

v_subrev_f16_e64 v5.l, v1.h, v2.l
// GFX11: v_subrev_f16_e64 v5.l, v1.h, v2.l op_sel:[1,0,0] ; encoding: [0x05,0x08,0x34,0xd5,0x01,0x05,0x02,0x02]

v_subrev_f16_e64 v5.l, v255.l, v255.h
// GFX11: v_subrev_f16_e64 v5.l, v255.l, v255.h op_sel:[0,1,0] ; encoding: [0x05,0x10,0x34,0xd5,0xff,0xff,0x03,0x02]

v_subrev_f16_e64 v255.h, -|0xfe0b|, -|vcc_hi| clamp div:2
// GFX11: v_subrev_f16_e64 v255.h, -|0xfe0b|, -|vcc_hi| op_sel:[0,0,1] clamp div:2 ; encoding: [0xff,0xc3,0x34,0xd5,0xff,0xd6,0x00,0x7a,0x0b,0xfe,0x00,0x00]

v_subrev_f32_e64 v5, v1, v2
// GFX11: v_subrev_f32_e64 v5, v1, v2             ; encoding: [0x05,0x00,0x05,0xd5,0x01,0x05,0x02,0x02]

v_subrev_f32_e64 v5, v255, v255
// GFX11: v_subrev_f32_e64 v5, v255, v255         ; encoding: [0x05,0x00,0x05,0xd5,0xff,0xff,0x03,0x02]

v_subrev_f32_e64 v5, s1, s2
// GFX11: v_subrev_f32_e64 v5, s1, s2             ; encoding: [0x05,0x00,0x05,0xd5,0x01,0x04,0x00,0x02]

v_subrev_f32_e64 v5, s105, s105
// GFX11: v_subrev_f32_e64 v5, s105, s105         ; encoding: [0x05,0x00,0x05,0xd5,0x69,0xd2,0x00,0x02]

v_subrev_f32_e64 v5, vcc_lo, ttmp15
// GFX11: v_subrev_f32_e64 v5, vcc_lo, ttmp15     ; encoding: [0x05,0x00,0x05,0xd5,0x6a,0xf6,0x00,0x02]

v_subrev_f32_e64 v5, vcc_hi, 0xaf123456
// GFX11: v_subrev_f32_e64 v5, vcc_hi, 0xaf123456 ; encoding: [0x05,0x00,0x05,0xd5,0x6b,0xfe,0x01,0x02,0x56,0x34,0x12,0xaf]

v_subrev_f32_e64 v5, ttmp15, src_scc
// GFX11: v_subrev_f32_e64 v5, ttmp15, src_scc    ; encoding: [0x05,0x00,0x05,0xd5,0x7b,0xfa,0x01,0x02]

v_subrev_f32_e64 v5, m0, 0.5
// GFX11: v_subrev_f32_e64 v5, m0, 0.5            ; encoding: [0x05,0x00,0x05,0xd5,0x7d,0xe0,0x01,0x02]

v_subrev_f32_e64 v5, exec_lo, -1
// GFX11: v_subrev_f32_e64 v5, exec_lo, -1        ; encoding: [0x05,0x00,0x05,0xd5,0x7e,0x82,0x01,0x02]

v_subrev_f32_e64 v5, |exec_hi|, null
// GFX11: v_subrev_f32_e64 v5, |exec_hi|, null    ; encoding: [0x05,0x01,0x05,0xd5,0x7f,0xf8,0x00,0x02]

v_subrev_f32_e64 v5, null, exec_lo
// GFX11: v_subrev_f32_e64 v5, null, exec_lo      ; encoding: [0x05,0x00,0x05,0xd5,0x7c,0xfc,0x00,0x02]

v_subrev_f32_e64 v5, -1, exec_hi
// GFX11: v_subrev_f32_e64 v5, -1, exec_hi        ; encoding: [0x05,0x00,0x05,0xd5,0xc1,0xfe,0x00,0x02]

v_subrev_f32_e64 v5, 0.5, -m0 mul:2
// GFX11: v_subrev_f32_e64 v5, 0.5, -m0 mul:2     ; encoding: [0x05,0x00,0x05,0xd5,0xf0,0xfa,0x00,0x4a]

v_subrev_f32_e64 v5, -src_scc, |vcc_lo| mul:4
// GFX11: v_subrev_f32_e64 v5, -src_scc, |vcc_lo| mul:4 ; encoding: [0x05,0x02,0x05,0xd5,0xfd,0xd4,0x00,0x32]

v_subrev_f32_e64 v255, -|0xaf123456|, -|vcc_hi| clamp div:2
// GFX11: v_subrev_f32_e64 v255, -|0xaf123456|, -|vcc_hi| clamp div:2 ; encoding: [0xff,0x83,0x05,0xd5,0xff,0xd6,0x00,0x7a,0x56,0x34,0x12,0xaf]

v_subrev_nc_u32_e64 v5, v1, v2
// GFX11: v_subrev_nc_u32_e64 v5, v1, v2          ; encoding: [0x05,0x00,0x27,0xd5,0x01,0x05,0x02,0x02]

v_subrev_nc_u32_e64 v5, v255, v255
// GFX11: v_subrev_nc_u32_e64 v5, v255, v255      ; encoding: [0x05,0x00,0x27,0xd5,0xff,0xff,0x03,0x02]

v_subrev_nc_u32_e64 v5, s1, s2
// GFX11: v_subrev_nc_u32_e64 v5, s1, s2          ; encoding: [0x05,0x00,0x27,0xd5,0x01,0x04,0x00,0x02]

v_subrev_nc_u32_e64 v5, s105, s105
// GFX11: v_subrev_nc_u32_e64 v5, s105, s105      ; encoding: [0x05,0x00,0x27,0xd5,0x69,0xd2,0x00,0x02]

v_subrev_nc_u32_e64 v5, vcc_lo, ttmp15
// GFX11: v_subrev_nc_u32_e64 v5, vcc_lo, ttmp15  ; encoding: [0x05,0x00,0x27,0xd5,0x6a,0xf6,0x00,0x02]

v_subrev_nc_u32_e64 v5, vcc_hi, 0xaf123456
// GFX11: v_subrev_nc_u32_e64 v5, vcc_hi, 0xaf123456 ; encoding: [0x05,0x00,0x27,0xd5,0x6b,0xfe,0x01,0x02,0x56,0x34,0x12,0xaf]

v_subrev_nc_u32_e64 v5, ttmp15, src_scc
// GFX11: v_subrev_nc_u32_e64 v5, ttmp15, src_scc ; encoding: [0x05,0x00,0x27,0xd5,0x7b,0xfa,0x01,0x02]

v_subrev_nc_u32_e64 v5, m0, 0.5
// GFX11: v_subrev_nc_u32_e64 v5, m0, 0.5         ; encoding: [0x05,0x00,0x27,0xd5,0x7d,0xe0,0x01,0x02]

v_subrev_nc_u32_e64 v5, exec_lo, -1
// GFX11: v_subrev_nc_u32_e64 v5, exec_lo, -1     ; encoding: [0x05,0x00,0x27,0xd5,0x7e,0x82,0x01,0x02]

v_subrev_nc_u32_e64 v5, exec_hi, null
// GFX11: v_subrev_nc_u32_e64 v5, exec_hi, null   ; encoding: [0x05,0x00,0x27,0xd5,0x7f,0xf8,0x00,0x02]

v_subrev_nc_u32_e64 v5, null, exec_lo
// GFX11: v_subrev_nc_u32_e64 v5, null, exec_lo   ; encoding: [0x05,0x00,0x27,0xd5,0x7c,0xfc,0x00,0x02]

v_subrev_nc_u32_e64 v5, -1, exec_hi
// GFX11: v_subrev_nc_u32_e64 v5, -1, exec_hi     ; encoding: [0x05,0x00,0x27,0xd5,0xc1,0xfe,0x00,0x02]

v_subrev_nc_u32_e64 v5, 0.5, m0
// GFX11: v_subrev_nc_u32_e64 v5, 0.5, m0         ; encoding: [0x05,0x00,0x27,0xd5,0xf0,0xfa,0x00,0x02]

v_subrev_nc_u32_e64 v5, src_scc, vcc_lo
// GFX11: v_subrev_nc_u32_e64 v5, src_scc, vcc_lo ; encoding: [0x05,0x00,0x27,0xd5,0xfd,0xd4,0x00,0x02]

v_subrev_nc_u32_e64 v255, 0xaf123456, vcc_hi clamp
// GFX11: v_subrev_nc_u32_e64 v255, 0xaf123456, vcc_hi clamp ; encoding: [0xff,0x80,0x27,0xd5,0xff,0xd6,0x00,0x02,0x56,0x34,0x12,0xaf]

v_xnor_b32_e64 v5, v1, v2
// GFX11: v_xnor_b32_e64 v5, v1, v2               ; encoding: [0x05,0x00,0x1e,0xd5,0x01,0x05,0x02,0x02]

v_xnor_b32_e64 v5, v255, v255
// GFX11: v_xnor_b32_e64 v5, v255, v255           ; encoding: [0x05,0x00,0x1e,0xd5,0xff,0xff,0x03,0x02]

v_xnor_b32_e64 v5, s1, s2
// GFX11: v_xnor_b32_e64 v5, s1, s2               ; encoding: [0x05,0x00,0x1e,0xd5,0x01,0x04,0x00,0x02]

v_xnor_b32_e64 v5, s105, s105
// GFX11: v_xnor_b32_e64 v5, s105, s105           ; encoding: [0x05,0x00,0x1e,0xd5,0x69,0xd2,0x00,0x02]

v_xnor_b32_e64 v5, vcc_lo, ttmp15
// GFX11: v_xnor_b32_e64 v5, vcc_lo, ttmp15       ; encoding: [0x05,0x00,0x1e,0xd5,0x6a,0xf6,0x00,0x02]

v_xnor_b32_e64 v5, vcc_hi, 0xaf123456
// GFX11: v_xnor_b32_e64 v5, vcc_hi, 0xaf123456   ; encoding: [0x05,0x00,0x1e,0xd5,0x6b,0xfe,0x01,0x02,0x56,0x34,0x12,0xaf]

v_xnor_b32_e64 v5, ttmp15, src_scc
// GFX11: v_xnor_b32_e64 v5, ttmp15, src_scc      ; encoding: [0x05,0x00,0x1e,0xd5,0x7b,0xfa,0x01,0x02]

v_xnor_b32_e64 v5, m0, 0.5
// GFX11: v_xnor_b32_e64 v5, m0, 0.5              ; encoding: [0x05,0x00,0x1e,0xd5,0x7d,0xe0,0x01,0x02]

v_xnor_b32_e64 v5, exec_lo, -1
// GFX11: v_xnor_b32_e64 v5, exec_lo, -1          ; encoding: [0x05,0x00,0x1e,0xd5,0x7e,0x82,0x01,0x02]

v_xnor_b32_e64 v5, exec_hi, null
// GFX11: v_xnor_b32_e64 v5, exec_hi, null        ; encoding: [0x05,0x00,0x1e,0xd5,0x7f,0xf8,0x00,0x02]

v_xnor_b32_e64 v5, null, exec_lo
// GFX11: v_xnor_b32_e64 v5, null, exec_lo        ; encoding: [0x05,0x00,0x1e,0xd5,0x7c,0xfc,0x00,0x02]

v_xnor_b32_e64 v5, -1, exec_hi
// GFX11: v_xnor_b32_e64 v5, -1, exec_hi          ; encoding: [0x05,0x00,0x1e,0xd5,0xc1,0xfe,0x00,0x02]

v_xnor_b32_e64 v5, 0.5, m0
// GFX11: v_xnor_b32_e64 v5, 0.5, m0              ; encoding: [0x05,0x00,0x1e,0xd5,0xf0,0xfa,0x00,0x02]

v_xnor_b32_e64 v5, src_scc, vcc_lo
// GFX11: v_xnor_b32_e64 v5, src_scc, vcc_lo      ; encoding: [0x05,0x00,0x1e,0xd5,0xfd,0xd4,0x00,0x02]

v_xnor_b32_e64 v255, 0xaf123456, vcc_hi
// GFX11: v_xnor_b32_e64 v255, 0xaf123456, vcc_hi ; encoding: [0xff,0x00,0x1e,0xd5,0xff,0xd6,0x00,0x02,0x56,0x34,0x12,0xaf]

v_xor_b32_e64 v5, v1, v2
// GFX11: v_xor_b32_e64 v5, v1, v2                ; encoding: [0x05,0x00,0x1d,0xd5,0x01,0x05,0x02,0x02]

v_xor_b32_e64 v5, v255, v255
// GFX11: v_xor_b32_e64 v5, v255, v255            ; encoding: [0x05,0x00,0x1d,0xd5,0xff,0xff,0x03,0x02]

v_xor_b32_e64 v5, s1, s2
// GFX11: v_xor_b32_e64 v5, s1, s2                ; encoding: [0x05,0x00,0x1d,0xd5,0x01,0x04,0x00,0x02]

v_xor_b32_e64 v5, s105, s105
// GFX11: v_xor_b32_e64 v5, s105, s105            ; encoding: [0x05,0x00,0x1d,0xd5,0x69,0xd2,0x00,0x02]

v_xor_b32_e64 v5, vcc_lo, ttmp15
// GFX11: v_xor_b32_e64 v5, vcc_lo, ttmp15        ; encoding: [0x05,0x00,0x1d,0xd5,0x6a,0xf6,0x00,0x02]

v_xor_b32_e64 v5, vcc_hi, 0xaf123456
// GFX11: v_xor_b32_e64 v5, vcc_hi, 0xaf123456    ; encoding: [0x05,0x00,0x1d,0xd5,0x6b,0xfe,0x01,0x02,0x56,0x34,0x12,0xaf]

v_xor_b32_e64 v5, ttmp15, src_scc
// GFX11: v_xor_b32_e64 v5, ttmp15, src_scc       ; encoding: [0x05,0x00,0x1d,0xd5,0x7b,0xfa,0x01,0x02]

v_xor_b32_e64 v5, m0, 0.5
// GFX11: v_xor_b32_e64 v5, m0, 0.5               ; encoding: [0x05,0x00,0x1d,0xd5,0x7d,0xe0,0x01,0x02]

v_xor_b32_e64 v5, exec_lo, -1
// GFX11: v_xor_b32_e64 v5, exec_lo, -1           ; encoding: [0x05,0x00,0x1d,0xd5,0x7e,0x82,0x01,0x02]

v_xor_b32_e64 v5, exec_hi, null
// GFX11: v_xor_b32_e64 v5, exec_hi, null         ; encoding: [0x05,0x00,0x1d,0xd5,0x7f,0xf8,0x00,0x02]

v_xor_b32_e64 v5, null, exec_lo
// GFX11: v_xor_b32_e64 v5, null, exec_lo         ; encoding: [0x05,0x00,0x1d,0xd5,0x7c,0xfc,0x00,0x02]

v_xor_b32_e64 v5, -1, exec_hi
// GFX11: v_xor_b32_e64 v5, -1, exec_hi           ; encoding: [0x05,0x00,0x1d,0xd5,0xc1,0xfe,0x00,0x02]

v_xor_b32_e64 v5, 0.5, m0
// GFX11: v_xor_b32_e64 v5, 0.5, m0               ; encoding: [0x05,0x00,0x1d,0xd5,0xf0,0xfa,0x00,0x02]

v_xor_b32_e64 v5, src_scc, vcc_lo
// GFX11: v_xor_b32_e64 v5, src_scc, vcc_lo       ; encoding: [0x05,0x00,0x1d,0xd5,0xfd,0xd4,0x00,0x02]

v_xor_b32_e64 v255, 0xaf123456, vcc_hi
// GFX11: v_xor_b32_e64 v255, 0xaf123456, vcc_hi  ; encoding: [0xff,0x00,0x1d,0xd5,0xff,0xd6,0x00,0x02,0x56,0x34,0x12,0xaf]
